;; amdgpu-corpus repo=ROCm/rocFFT kind=compiled arch=gfx1100 opt=O3
	.text
	.amdgcn_target "amdgcn-amd-amdhsa--gfx1100"
	.amdhsa_code_object_version 6
	.protected	bluestein_single_back_len1176_dim1_sp_op_CI_CI ; -- Begin function bluestein_single_back_len1176_dim1_sp_op_CI_CI
	.globl	bluestein_single_back_len1176_dim1_sp_op_CI_CI
	.p2align	8
	.type	bluestein_single_back_len1176_dim1_sp_op_CI_CI,@function
bluestein_single_back_len1176_dim1_sp_op_CI_CI: ; @bluestein_single_back_len1176_dim1_sp_op_CI_CI
; %bb.0:
	s_load_b128 s[16:19], s[0:1], 0x28
	v_mul_u32_u24_e32 v1, 0x493, v0
	s_mov_b32 s2, exec_lo
	v_mov_b32_e32 v133, 0
	s_delay_alu instid0(VALU_DEP_2) | instskip(NEXT) | instid1(VALU_DEP_1)
	v_lshrrev_b32_e32 v1, 16, v1
	v_add_nc_u32_e32 v132, s15, v1
	s_waitcnt lgkmcnt(0)
	s_delay_alu instid0(VALU_DEP_1)
	v_cmpx_gt_u64_e64 s[16:17], v[132:133]
	s_cbranch_execz .LBB0_31
; %bb.1:
	s_clause 0x1
	s_load_b128 s[4:7], s[0:1], 0x18
	s_load_b64 s[12:13], s[0:1], 0x0
	v_mul_lo_u16 v1, v1, 56
	s_delay_alu instid0(VALU_DEP_1) | instskip(NEXT) | instid1(VALU_DEP_1)
	v_sub_nc_u16 v2, v0, v1
	v_and_b32_e32 v173, 0xffff, v2
	s_waitcnt lgkmcnt(0)
	s_load_b128 s[8:11], s[4:5], 0x0
	s_waitcnt lgkmcnt(0)
	v_mad_u64_u32 v[0:1], null, s10, v132, 0
	v_mad_u64_u32 v[3:4], null, s8, v173, 0
	s_mul_i32 s3, s9, 0x24c
	s_mul_hi_u32 s5, s8, 0x24c
	s_mul_hi_u32 s10, s8, 0xfffffdec
	s_add_i32 s3, s5, s3
	s_delay_alu instid0(VALU_DEP_2) | instskip(SKIP_4) | instid1(VALU_DEP_1)
	v_mad_u64_u32 v[5:6], null, s11, v132, v[1:2]
	s_sub_i32 s5, s10, s8
	s_mul_i32 s14, s9, 0xfffffdec
	s_mul_i32 s4, s8, 0xfffffdec
	s_add_i32 s5, s5, s14
	v_mad_u64_u32 v[6:7], null, s9, v173, v[4:5]
	v_mov_b32_e32 v1, v5
	s_delay_alu instid0(VALU_DEP_1) | instskip(NEXT) | instid1(VALU_DEP_3)
	v_lshlrev_b64 v[0:1], 3, v[0:1]
	v_mov_b32_e32 v4, v6
	v_or_b32_e32 v172, 0x1c0, v173
	s_delay_alu instid0(VALU_DEP_2) | instskip(NEXT) | instid1(VALU_DEP_2)
	v_lshlrev_b64 v[3:4], 3, v[3:4]
	v_mad_u64_u32 v[7:8], null, s8, v172, 0
	s_delay_alu instid0(VALU_DEP_1) | instskip(NEXT) | instid1(VALU_DEP_1)
	v_mov_b32_e32 v5, v8
	v_mad_u64_u32 v[11:12], null, s9, v172, v[5:6]
	s_delay_alu instid0(VALU_DEP_1) | instskip(NEXT) | instid1(VALU_DEP_1)
	v_dual_mov_b32 v8, v11 :: v_dual_lshlrev_b32 v171, 3, v173
	v_add_co_u32 v42, s2, s12, v171
	s_delay_alu instid0(VALU_DEP_1) | instskip(SKIP_1) | instid1(VALU_DEP_2)
	v_add_co_ci_u32_e64 v43, null, s13, 0, s2
	s_mul_i32 s2, s8, 0x24c
	v_add_co_u32 v120, vcc_lo, 0x1000, v42
	s_delay_alu instid0(VALU_DEP_2) | instskip(SKIP_3) | instid1(VALU_DEP_2)
	v_add_co_ci_u32_e32 v121, vcc_lo, 0, v43, vcc_lo
	v_add_co_u32 v18, vcc_lo, s18, v0
	v_add_co_ci_u32_e32 v19, vcc_lo, s19, v1, vcc_lo
	s_lshl_b64 s[10:11], s[2:3], 3
	v_add_co_u32 v0, vcc_lo, v18, v3
	s_delay_alu instid0(VALU_DEP_2) | instskip(SKIP_1) | instid1(VALU_DEP_2)
	v_add_co_ci_u32_e32 v1, vcc_lo, v19, v4, vcc_lo
	s_lshl_b64 s[2:3], s[4:5], 3
	v_add_co_u32 v3, vcc_lo, v0, s10
	s_delay_alu instid0(VALU_DEP_2) | instskip(SKIP_1) | instid1(VALU_DEP_3)
	v_add_co_ci_u32_e32 v4, vcc_lo, s11, v1, vcc_lo
	v_lshlrev_b64 v[7:8], 3, v[7:8]
	v_add_co_u32 v9, vcc_lo, v3, s2
	s_delay_alu instid0(VALU_DEP_3)
	v_add_co_ci_u32_e32 v10, vcc_lo, s3, v4, vcc_lo
	s_clause 0x4
	global_load_b64 v[163:164], v171, s[12:13]
	global_load_b64 v[157:158], v171, s[12:13] offset:448
	global_load_b64 v[151:152], v171, s[12:13] offset:896
	;; [unrolled: 1-line block ×4, first 2 shown]
	v_add_co_u32 v5, vcc_lo, v9, s10
	v_add_co_ci_u32_e32 v6, vcc_lo, s11, v10, vcc_lo
	s_clause 0x3
	global_load_b64 v[161:162], v[120:121], off offset:608
	global_load_b64 v[159:160], v[120:121], off offset:1056
	;; [unrolled: 1-line block ×4, first 2 shown]
	v_add_co_u32 v12, vcc_lo, v5, s2
	v_add_co_ci_u32_e32 v13, vcc_lo, s3, v6, vcc_lo
	global_load_b64 v[20:21], v[0:1], off
	v_add_co_u32 v14, vcc_lo, v12, s10
	v_add_co_ci_u32_e32 v15, vcc_lo, s11, v13, vcc_lo
	v_add_nc_u32_e32 v54, 0x1400, v171
	s_delay_alu instid0(VALU_DEP_3) | instskip(NEXT) | instid1(VALU_DEP_3)
	v_add_co_u32 v16, vcc_lo, v14, s2
	v_add_co_ci_u32_e32 v17, vcc_lo, s3, v15, vcc_lo
	v_add_co_u32 v7, vcc_lo, v18, v7
	v_add_co_ci_u32_e32 v8, vcc_lo, v19, v8, vcc_lo
	s_delay_alu instid0(VALU_DEP_4) | instskip(NEXT) | instid1(VALU_DEP_4)
	v_add_co_u32 v18, vcc_lo, v16, s10
	v_add_co_ci_u32_e32 v19, vcc_lo, s11, v17, vcc_lo
	global_load_b64 v[7:8], v[7:8], off
	v_add_co_u32 v0, vcc_lo, v18, s2
	v_add_co_ci_u32_e32 v1, vcc_lo, s3, v19, vcc_lo
	s_clause 0x2
	global_load_b64 v[24:25], v[3:4], off
	global_load_b64 v[9:10], v[9:10], off
	;; [unrolled: 1-line block ×3, first 2 shown]
	v_add_co_u32 v22, vcc_lo, v0, s10
	v_add_co_ci_u32_e32 v23, vcc_lo, s11, v1, vcc_lo
	global_load_b64 v[11:12], v[12:13], off
	v_add_co_u32 v3, vcc_lo, v22, s2
	v_add_co_ci_u32_e32 v4, vcc_lo, s3, v23, vcc_lo
	global_load_b64 v[13:14], v[14:15], off
	;; [unrolled: 3-line block ×5, first 2 shown]
	v_add_co_u32 v32, vcc_lo, v30, s2
	v_add_co_ci_u32_e32 v33, vcc_lo, s3, v31, vcc_lo
	s_clause 0x1
	global_load_b64 v[147:148], v171, s[12:13] offset:1792
	global_load_b64 v[143:144], v[120:121], off offset:2400
	v_add_co_u32 v0, vcc_lo, v32, s10
	v_add_co_ci_u32_e32 v1, vcc_lo, s11, v33, vcc_lo
	global_load_b64 v[22:23], v[22:23], off
	global_load_b64 v[145:146], v171, s[12:13] offset:2240
	global_load_b64 v[38:39], v[3:4], off
	global_load_b64 v[141:142], v[120:121], off offset:2848
	global_load_b64 v[40:41], v[5:6], off
	v_add_co_u32 v122, vcc_lo, 0x2000, v42
	v_mad_u64_u32 v[36:37], null, 0x1c0, s8, v[0:1]
	v_add_co_ci_u32_e32 v123, vcc_lo, 0, v43, vcc_lo
	global_load_b64 v[135:136], v[120:121], off offset:3296
	global_load_b64 v[30:31], v[30:31], off
	global_load_b64 v[28:29], v[28:29], off
	s_clause 0x3
	global_load_b64 v[139:140], v171, s[12:13] offset:2688
	global_load_b64 v[137:138], v171, s[12:13] offset:3136
	global_load_b64 v[133:134], v[120:121], off offset:3744
	global_load_b64 v[126:127], v[122:123], off offset:96
	global_load_b64 v[32:33], v[32:33], off
	global_load_b64 v[42:43], v[0:1], off
	v_dual_mov_b32 v3, v37 :: v_dual_add_nc_u32 v6, 0x1000, v171
	s_delay_alu instid0(VALU_DEP_1) | instskip(SKIP_2) | instid1(VALU_DEP_3)
	v_mad_u64_u32 v[4:5], null, 0x1c0, s9, v[3:4]
	v_add_co_u32 v3, vcc_lo, v36, s2
	v_add_nc_u32_e32 v5, 0x400, v171
	v_mov_b32_e32 v37, v4
	s_waitcnt vmcnt(24)
	v_dual_mul_f32 v19, v21, v164 :: v_dual_mul_f32 v56, v7, v125
	s_delay_alu instid0(VALU_DEP_2)
	v_add_co_ci_u32_e32 v4, vcc_lo, s3, v37, vcc_lo
	v_add_co_u32 v0, vcc_lo, v3, s10
	s_waitcnt vmcnt(22)
	v_mul_f32_e32 v52, v10, v158
	global_load_b64 v[36:37], v[36:37], off
	v_add_co_ci_u32_e32 v1, vcc_lo, s11, v4, vcc_lo
	global_load_b64 v[128:129], v171, s[12:13] offset:4032
	global_load_b64 v[44:45], v[3:4], off
	global_load_b64 v[130:131], v[122:123], off offset:544
	global_load_b64 v[46:47], v[0:1], off
	v_dual_mul_f32 v49, v20, v164 :: v_dual_fmac_f32 v52, v9, v157
	v_dual_mul_f32 v50, v25, v162 :: v_dual_add_nc_u32 v3, 0x800, v171
	v_mul_f32_e32 v48, v8, v125
	v_fmac_f32_e32 v19, v20, v163
	s_delay_alu instid0(VALU_DEP_4)
	v_fma_f32 v20, v21, v163, -v49
	v_mul_f32_e32 v21, v24, v162
	v_dual_mul_f32 v49, v9, v158 :: v_dual_fmac_f32 v50, v24, v161
	v_dual_fmac_f32 v48, v7, v124 :: v_dual_add_nc_u32 v55, 0x1c00, v171
	s_waitcnt vmcnt(26)
	v_mul_f32_e32 v7, v27, v160
	s_delay_alu instid0(VALU_DEP_3)
	v_fma_f32 v53, v10, v157, -v49
	s_waitcnt vmcnt(24)
	v_mul_f32_e32 v10, v13, v156
	v_fma_f32 v51, v25, v161, -v21
	s_load_b64 s[8:9], s[0:1], 0x38
	s_load_b128 s[4:7], s[6:7], 0x0
	v_fma_f32 v49, v8, v124, -v56
	v_mul_f32_e32 v8, v26, v160
	v_fmac_f32_e32 v7, v26, v159
	ds_store_b64 v171, v[50:51] offset:4704
	ds_store_2addr_b64 v171, v[19:20], v[52:53] offset1:56
	v_mul_f32_e32 v20, v11, v152
	v_mul_f32_e32 v9, v14, v156
	;; [unrolled: 1-line block ×3, first 2 shown]
	v_fma_f32 v8, v27, v159, -v8
	v_fma_f32 v10, v14, v155, -v10
	;; [unrolled: 1-line block ×3, first 2 shown]
	s_waitcnt vmcnt(22)
	v_dual_mul_f32 v12, v15, v150 :: v_dual_fmac_f32 v9, v13, v155
	s_waitcnt vmcnt(18)
	v_dual_fmac_f32 v19, v11, v151 :: v_dual_mul_f32 v14, v22, v144
	v_mul_f32_e32 v11, v16, v150
	v_mul_f32_e32 v13, v23, v144
	ds_store_2addr_b64 v6, v[7:8], v[9:10] offset0:132 offset1:188
	v_mul_f32_e32 v7, v18, v154
	v_dual_mul_f32 v8, v17, v154 :: v_dual_fmac_f32 v11, v15, v149
	v_mul_f32_e32 v9, v35, v148
	v_fma_f32 v12, v16, v149, -v12
	s_waitcnt vmcnt(16)
	v_dual_mul_f32 v10, v34, v148 :: v_dual_mul_f32 v15, v39, v146
	v_dual_mul_f32 v16, v38, v146 :: v_dual_fmac_f32 v7, v17, v153
	v_fma_f32 v8, v18, v153, -v8
	v_fmac_f32_e32 v13, v22, v143
	v_fma_f32 v14, v23, v143, -v14
	v_fma_f32 v10, v35, v147, -v10
	v_fmac_f32_e32 v15, v38, v145
	v_fma_f32 v16, v39, v145, -v16
	ds_store_2addr_b64 v171, v[19:20], v[11:12] offset0:112 offset1:168
	ds_store_2addr_b64 v54, v[7:8], v[13:14] offset0:116 offset1:172
	s_waitcnt vmcnt(6)
	v_dual_mul_f32 v12, v32, v138 :: v_dual_fmac_f32 v9, v34, v147
	v_mul_f32_e32 v17, v41, v142
	v_dual_mul_f32 v8, v40, v142 :: v_dual_mul_f32 v7, v31, v136
	v_mul_f32_e32 v11, v28, v140
	ds_store_2addr_b64 v5, v[9:10], v[15:16] offset0:96 offset1:152
	v_mul_f32_e32 v10, v30, v136
	v_dual_fmac_f32 v17, v40, v141 :: v_dual_add_nc_u32 v4, 0x1800, v171
	v_fma_f32 v18, v41, v141, -v8
	v_fmac_f32_e32 v7, v30, v135
	s_delay_alu instid0(VALU_DEP_4)
	v_fma_f32 v8, v31, v135, -v10
	v_mul_f32_e32 v9, v29, v140
	v_fma_f32 v10, v29, v139, -v11
	v_mul_f32_e32 v11, v33, v138
	v_fma_f32 v12, v33, v137, -v12
	ds_store_2addr_b64 v4, v[17:18], v[7:8] offset0:100 offset1:156
	s_waitcnt vmcnt(5)
	v_mul_f32_e32 v7, v43, v134
	v_dual_mul_f32 v8, v42, v134 :: v_dual_fmac_f32 v9, v28, v139
	v_fmac_f32_e32 v11, v32, v137
	v_cmp_gt_u16_e32 vcc_lo, 28, v2
	s_delay_alu instid0(VALU_DEP_4) | instskip(NEXT) | instid1(VALU_DEP_4)
	v_fmac_f32_e32 v7, v42, v133
	v_fma_f32 v8, v43, v133, -v8
	s_waitcnt vmcnt(2)
	v_dual_mul_f32 v13, v37, v127 :: v_dual_mul_f32 v16, v44, v129
	v_dual_mul_f32 v14, v36, v127 :: v_dual_mul_f32 v15, v45, v129
	s_waitcnt vmcnt(0)
	v_mul_f32_e32 v17, v47, v131
	s_delay_alu instid0(VALU_DEP_3) | instskip(NEXT) | instid1(VALU_DEP_3)
	v_dual_mul_f32 v18, v46, v131 :: v_dual_fmac_f32 v13, v36, v126
	v_fma_f32 v14, v37, v126, -v14
	v_fmac_f32_e32 v15, v44, v128
	v_fma_f32 v16, v45, v128, -v16
	v_fmac_f32_e32 v17, v46, v130
	v_fma_f32 v18, v47, v130, -v18
	ds_store_2addr_b64 v3, v[9:10], v[11:12] offset0:80 offset1:136
	ds_store_2addr_b64 v55, v[7:8], v[13:14] offset0:84 offset1:140
	;; [unrolled: 1-line block ×3, first 2 shown]
	ds_store_b64 v171, v[17:18] offset:8736
	s_and_saveexec_b32 s14, vcc_lo
	s_cbranch_execz .LBB0_3
; %bb.2:
	v_add_co_u32 v0, s2, v0, s2
	s_delay_alu instid0(VALU_DEP_1) | instskip(NEXT) | instid1(VALU_DEP_2)
	v_add_co_ci_u32_e64 v1, s2, s3, v1, s2
	v_add_co_u32 v7, s2, v0, s10
	s_delay_alu instid0(VALU_DEP_1)
	v_add_co_ci_u32_e64 v8, s2, s11, v1, s2
	global_load_b64 v[0:1], v[0:1], off
	s_clause 0x1
	global_load_b64 v[9:10], v[120:121], off offset:384
	global_load_b64 v[11:12], v[122:123], off offset:992
	global_load_b64 v[7:8], v[7:8], off
	s_waitcnt vmcnt(2)
	v_mul_f32_e32 v13, v1, v10
	v_mul_f32_e32 v2, v0, v10
	s_waitcnt vmcnt(0)
	v_mul_f32_e32 v10, v8, v12
	s_delay_alu instid0(VALU_DEP_3) | instskip(NEXT) | instid1(VALU_DEP_3)
	v_dual_mul_f32 v12, v7, v12 :: v_dual_fmac_f32 v13, v0, v9
	v_fma_f32 v14, v1, v9, -v2
	s_delay_alu instid0(VALU_DEP_3) | instskip(NEXT) | instid1(VALU_DEP_3)
	v_fmac_f32_e32 v10, v7, v11
	v_fma_f32 v11, v8, v11, -v12
	ds_store_b64 v171, v[13:14] offset:4480
	ds_store_b64 v171, v[10:11] offset:9184
.LBB0_3:
	s_or_b32 exec_lo, exec_lo, s14
	v_add_nc_u32_e32 v0, 0x2000, v171
	s_waitcnt lgkmcnt(0)
	s_barrier
	buffer_gl0_inv
	ds_load_2addr_b64 v[23:26], v171 offset1:56
	ds_load_2addr_b64 v[35:38], v6 offset0:76 offset1:132
	ds_load_2addr_b64 v[11:14], v171 offset0:112 offset1:168
	;; [unrolled: 1-line block ×9, first 2 shown]
                                        ; implicit-def: $vgpr43
                                        ; implicit-def: $vgpr0
	s_and_saveexec_b32 s2, vcc_lo
	s_cbranch_execz .LBB0_5
; %bb.4:
	ds_load_b64 v[0:1], v171 offset:4480
	ds_load_b64 v[43:44], v171 offset:9184
.LBB0_5:
	s_or_b32 exec_lo, exec_lo, s2
	s_load_b64 s[0:1], s[0:1], 0x8
	v_add_co_u32 v46, s2, v173, 56
	s_waitcnt lgkmcnt(0)
	v_dual_sub_f32 v54, v23, v35 :: v_dual_lshlrev_b32 v51, 1, v173
	v_dual_sub_f32 v55, v24, v36 :: v_dual_sub_f32 v38, v26, v38
	v_dual_sub_f32 v37, v25, v37 :: v_dual_sub_f32 v28, v12, v28
	;; [unrolled: 1-line block ×4, first 2 shown]
	v_sub_f32_e32 v65, v7, v39
	v_sub_f32_e32 v15, v3, v15
	v_add_co_ci_u32_e64 v2, null, 0, 0, s2
	v_add_co_u32 v45, s2, 0x70, v173
	s_delay_alu instid0(VALU_DEP_1)
	v_add_co_ci_u32_e64 v2, null, 0, 0, s2
	v_add_co_u32 v50, null, 0xa8, v173
	v_add_co_u32 v49, null, 0xe0, v173
	;; [unrolled: 1-line block ×5, first 2 shown]
	v_fma_f32 v52, v23, 2.0, -v54
	v_fma_f32 v53, v24, 2.0, -v55
	;; [unrolled: 1-line block ×7, first 2 shown]
	v_dual_sub_f32 v11, v9, v41 :: v_dual_sub_f32 v32, v20, v32
	v_sub_f32_e32 v12, v10, v42
	v_fma_f32 v63, v7, 2.0, -v65
	v_fma_f32 v64, v8, 2.0, -v66
	v_dual_sub_f32 v31, v19, v31 :: v_dual_sub_f32 v24, v22, v34
	v_dual_sub_f32 v7, v5, v17 :: v_dual_sub_f32 v2, v0, v43
	v_sub_f32_e32 v8, v6, v18
	v_fma_f32 v13, v3, 2.0, -v15
	v_dual_sub_f32 v3, v1, v44 :: v_dual_lshlrev_b32 v178, 4, v45
	v_lshlrev_b32_e32 v119, 4, v173
	v_dual_sub_f32 v23, v21, v33 :: v_dual_sub_f32 v16, v4, v16
	v_fma_f32 v60, v14, 2.0, -v62
	v_fma_f32 v9, v9, 2.0, -v11
	;; [unrolled: 1-line block ×7, first 2 shown]
	s_barrier
	v_lshlrev_b32_e32 v177, 4, v46
	buffer_gl0_inv
	ds_store_b128 v119, v[52:55]
	v_lshlrev_b32_e32 v52, 1, v46
	v_lshlrev_b32_e32 v44, 1, v45
	;; [unrolled: 1-line block ×10, first 2 shown]
	v_add_nc_u32_e32 v198, 0x310, v51
	v_lshlrev_b32_e32 v54, 1, v172
	v_lshlrev_b32_e32 v184, 4, v172
	v_add_nc_u32_e32 v202, 0x3f0, v51
	v_lshlrev_b32_e32 v183, 4, v58
	v_fma_f32 v21, v21, 2.0, -v23
	v_fma_f32 v22, v22, 2.0, -v24
	;; [unrolled: 1-line block ×3, first 2 shown]
	v_lshlrev_b32_e32 v4, 3, v51
	v_fma_f32 v5, v5, 2.0, -v7
	v_fma_f32 v6, v6, 2.0, -v8
	ds_store_b128 v177, v[35:38]
	ds_store_b128 v178, v[25:28]
	;; [unrolled: 1-line block ×6, first 2 shown]
	ds_store_b128 v4, v[21:24] offset:6272
	ds_store_b128 v184, v[13:16]
	ds_store_b128 v4, v[5:8] offset:8064
	s_and_saveexec_b32 s2, vcc_lo
	s_cbranch_execz .LBB0_7
; %bb.6:
	ds_store_b128 v183, v[0:3]
.LBB0_7:
	s_or_b32 exec_lo, exec_lo, s2
	v_add_nc_u32_e32 v12, 0x1000, v171
	v_add_nc_u32_e32 v16, 0x1800, v171
	;; [unrolled: 1-line block ×5, first 2 shown]
	s_waitcnt lgkmcnt(0)
	s_barrier
	buffer_gl0_inv
	ds_load_2addr_b64 v[4:7], v171 offset1:56
	ds_load_2addr_b64 v[24:27], v12 offset0:76 offset1:132
	ds_load_2addr_b64 v[8:11], v171 offset0:112 offset1:168
	;; [unrolled: 1-line block ×9, first 2 shown]
	s_and_saveexec_b32 s2, vcc_lo
	s_cbranch_execz .LBB0_9
; %bb.8:
	ds_load_b64 v[0:1], v171 offset:4480
	ds_load_b64 v[2:3], v171 offset:9184
.LBB0_9:
	s_or_b32 exec_lo, exec_lo, s2
	v_and_b32_e32 v175, 1, v173
	s_delay_alu instid0(VALU_DEP_1)
	v_lshlrev_b32_e32 v59, 3, v175
	global_load_b64 v[167:168], v59, s[0:1]
	v_lshlrev_b32_e32 v174, 1, v58
	v_and_or_b32 v58, 0x7c, v51, v175
	s_waitcnt vmcnt(0) lgkmcnt(0)
	s_barrier
	buffer_gl0_inv
	v_lshlrev_b32_e32 v194, 3, v58
	v_mul_f32_e32 v58, v25, v168
	v_and_or_b32 v59, 0xfc, v52, v175
	v_and_or_b32 v60, 0x1fc, v44, v175
	;; [unrolled: 1-line block ×8, first 2 shown]
	v_lshlrev_b32_e32 v193, 3, v59
	v_dual_mul_f32 v59, v24, v168 :: v_dual_lshlrev_b32 v190, 3, v62
	v_lshlrev_b32_e32 v192, 3, v60
	v_mul_f32_e32 v60, v27, v168
	v_mul_f32_e32 v62, v29, v168
	v_and_or_b32 v67, 0x7fc, v202, v175
	v_fmac_f32_e32 v59, v25, v167
	v_lshlrev_b32_e32 v191, 3, v61
	v_lshlrev_b32_e32 v189, 3, v63
	v_dual_mul_f32 v68, v43, v168 :: v_dual_lshlrev_b32 v187, 3, v65
	v_dual_mul_f32 v65, v30, v168 :: v_dual_lshlrev_b32 v186, 3, v66
	v_mul_f32_e32 v61, v26, v168
	v_lshlrev_b32_e32 v188, 3, v64
	v_mul_f32_e32 v64, v31, v168
	v_mul_f32_e32 v66, v41, v168
	;; [unrolled: 1-line block ×4, first 2 shown]
	v_fma_f32 v24, v24, v167, -v58
	v_fma_f32 v25, v26, v167, -v60
	;; [unrolled: 1-line block ×3, first 2 shown]
	v_fmac_f32_e32 v71, v37, v167
	v_mul_f32_e32 v69, v42, v168
	v_dual_mul_f32 v70, v37, v168 :: v_dual_lshlrev_b32 v185, 3, v67
	v_mul_f32_e32 v63, v28, v168
	v_mul_f32_e32 v67, v40, v168
	;; [unrolled: 1-line block ×3, first 2 shown]
	v_dual_mul_f32 v74, v33, v168 :: v_dual_fmac_f32 v65, v31, v167
	v_fma_f32 v28, v30, v167, -v64
	v_fma_f32 v30, v40, v167, -v66
	;; [unrolled: 1-line block ×4, first 2 shown]
	v_mul_f32_e32 v79, v2, v168
	v_sub_f32_e32 v2, v4, v24
	v_sub_f32_e32 v24, v6, v25
	v_dual_mul_f32 v76, v35, v168 :: v_dual_fmac_f32 v67, v41, v167
	v_dual_sub_f32 v26, v8, v26 :: v_dual_fmac_f32 v69, v43, v167
	v_dual_mul_f32 v73, v38, v168 :: v_dual_sub_f32 v30, v12, v30
	v_fmac_f32_e32 v63, v29, v167
	v_fma_f32 v37, v38, v167, -v72
	v_fma_f32 v38, v32, v167, -v74
	v_mul_f32_e32 v77, v34, v168
	v_fma_f32 v41, v34, v167, -v76
	v_mul_f32_e32 v75, v32, v168
	v_dual_sub_f32 v42, v0, v42 :: v_dual_fmac_f32 v79, v3, v167
	s_delay_alu instid0(VALU_DEP_3) | instskip(SKIP_4) | instid1(VALU_DEP_4)
	v_dual_fmac_f32 v61, v27, v167 :: v_dual_sub_f32 v58, v18, v41
	v_fma_f32 v36, v36, v167, -v70
	v_dual_fmac_f32 v73, v39, v167 :: v_dual_sub_f32 v28, v10, v28
	v_dual_fmac_f32 v75, v33, v167 :: v_dual_sub_f32 v32, v14, v40
	v_dual_sub_f32 v3, v5, v59 :: v_dual_sub_f32 v38, v16, v38
	v_dual_fmac_f32 v77, v35, v167 :: v_dual_sub_f32 v34, v20, v36
	v_sub_f32_e32 v43, v1, v79
	v_sub_f32_e32 v25, v7, v61
	;; [unrolled: 1-line block ×6, first 2 shown]
	v_dual_sub_f32 v35, v21, v71 :: v_dual_sub_f32 v36, v22, v37
	v_sub_f32_e32 v37, v23, v73
	v_sub_f32_e32 v39, v17, v75
	;; [unrolled: 1-line block ×3, first 2 shown]
	v_fma_f32 v4, v4, 2.0, -v2
	v_fma_f32 v5, v5, 2.0, -v3
	;; [unrolled: 1-line block ×22, first 2 shown]
	ds_store_2addr_b64 v194, v[4:5], v[2:3] offset1:2
	ds_store_2addr_b64 v193, v[6:7], v[24:25] offset1:2
	;; [unrolled: 1-line block ×10, first 2 shown]
	s_and_saveexec_b32 s2, vcc_lo
	s_cbranch_execz .LBB0_11
; %bb.10:
	v_and_or_b32 v0, 0x4fc, v174, v175
	s_delay_alu instid0(VALU_DEP_1)
	v_lshlrev_b32_e32 v0, 3, v0
	ds_store_2addr_b64 v0, v[40:41], v[42:43] offset1:2
.LBB0_11:
	s_or_b32 exec_lo, exec_lo, s2
	v_add_nc_u32_e32 v8, 0x1000, v171
	v_add_nc_u32_e32 v12, 0x1800, v171
	;; [unrolled: 1-line block ×5, first 2 shown]
	s_waitcnt lgkmcnt(0)
	s_barrier
	buffer_gl0_inv
	ds_load_2addr_b64 v[0:3], v171 offset1:56
	ds_load_2addr_b64 v[20:23], v8 offset0:76 offset1:132
	ds_load_2addr_b64 v[4:7], v171 offset0:112 offset1:168
	;; [unrolled: 1-line block ×9, first 2 shown]
	s_and_saveexec_b32 s2, vcc_lo
	s_cbranch_execz .LBB0_13
; %bb.12:
	ds_load_b64 v[40:41], v171 offset:4480
	ds_load_b64 v[42:43], v171 offset:9184
.LBB0_13:
	s_or_b32 exec_lo, exec_lo, s2
	v_and_b32_e32 v176, 3, v173
	s_delay_alu instid0(VALU_DEP_1)
	v_lshlrev_b32_e32 v58, 3, v176
	v_and_or_b32 v51, 0x78, v51, v176
	global_load_b64 v[165:166], v58, s[0:1] offset:16
	v_lshlrev_b32_e32 v206, 3, v51
	s_waitcnt vmcnt(0) lgkmcnt(0)
	s_barrier
	buffer_gl0_inv
	v_mul_f32_e32 v51, v20, v166
	v_and_or_b32 v52, 0xf8, v52, v176
	v_and_or_b32 v44, 0x1f8, v44, v176
	;; [unrolled: 1-line block ×8, first 2 shown]
	v_lshlrev_b32_e32 v205, 3, v52
	v_lshlrev_b32_e32 v204, 3, v44
	;; [unrolled: 1-line block ×4, first 2 shown]
	v_dual_fmac_f32 v51, v21, v165 :: v_dual_lshlrev_b32 v196, 3, v54
	v_dual_mul_f32 v44, v21, v166 :: v_dual_lshlrev_b32 v195, 3, v59
	v_mul_f32_e32 v54, v25, v166
	v_mul_f32_e32 v55, v24, v166
	;; [unrolled: 1-line block ×4, first 2 shown]
	v_and_or_b32 v53, 0x3f8, v53, v176
	v_dual_mul_f32 v52, v23, v166 :: v_dual_lshlrev_b32 v203, 3, v56
	v_mul_f32_e32 v57, v26, v166
	v_dual_mul_f32 v64, v35, v166 :: v_dual_fmac_f32 v59, v37, v165
	v_mul_f32_e32 v66, v29, v166
	v_fma_f32 v20, v20, v165, -v44
	s_delay_alu instid0(VALU_DEP_4)
	v_fmac_f32_e32 v57, v27, v165
	v_lshlrev_b32_e32 v197, 3, v58
	v_mul_f32_e32 v58, v37, v166
	v_fma_f32 v24, v24, v165, -v54
	v_dual_sub_f32 v20, v0, v20 :: v_dual_mul_f32 v61, v38, v166
	v_fmac_f32_e32 v55, v25, v165
	v_fma_f32 v37, v38, v165, -v60
	s_delay_alu instid0(VALU_DEP_4)
	v_sub_f32_e32 v24, v4, v24
	v_mul_f32_e32 v63, v32, v166
	v_dual_mul_f32 v68, v31, v166 :: v_dual_lshlrev_b32 v199, 3, v53
	v_mul_f32_e32 v56, v27, v166
	v_mul_f32_e32 v53, v22, v166
	;; [unrolled: 1-line block ×4, first 2 shown]
	v_fma_f32 v22, v22, v165, -v52
	v_fma_f32 v36, v36, v165, -v58
	v_fmac_f32_e32 v53, v23, v165
	v_fmac_f32_e32 v61, v39, v165
	v_fma_f32 v38, v28, v165, -v66
	v_sub_f32_e32 v22, v2, v22
	v_fma_f32 v39, v30, v165, -v68
	v_mul_f32_e32 v65, v34, v166
	v_mul_f32_e32 v67, v28, v166
	v_fma_f32 v32, v32, v165, -v62
	v_mul_f32_e32 v69, v30, v166
	v_dual_fmac_f32 v71, v43, v165 :: v_dual_sub_f32 v28, v8, v36
	v_sub_f32_e32 v36, v12, v38
	v_sub_f32_e32 v38, v14, v39
	v_dual_mul_f32 v70, v43, v166 :: v_dual_fmac_f32 v67, v29, v165
	v_fma_f32 v26, v26, v165, -v56
	v_fma_f32 v34, v34, v165, -v64
	v_fmac_f32_e32 v65, v35, v165
	s_delay_alu instid0(VALU_DEP_4) | instskip(SKIP_2) | instid1(VALU_DEP_3)
	v_fma_f32 v42, v42, v165, -v70
	v_dual_sub_f32 v21, v1, v51 :: v_dual_sub_f32 v30, v10, v37
	v_dual_fmac_f32 v63, v33, v165 :: v_dual_sub_f32 v32, v16, v32
	v_dual_sub_f32 v76, v40, v42 :: v_dual_fmac_f32 v69, v31, v165
	v_dual_sub_f32 v34, v18, v34 :: v_dual_sub_f32 v23, v3, v53
	v_dual_sub_f32 v25, v5, v55 :: v_dual_sub_f32 v26, v6, v26
	v_sub_f32_e32 v27, v7, v57
	v_sub_f32_e32 v29, v9, v59
	;; [unrolled: 1-line block ×8, first 2 shown]
	v_fma_f32 v0, v0, 2.0, -v20
	v_fma_f32 v1, v1, 2.0, -v21
	;; [unrolled: 1-line block ×20, first 2 shown]
	ds_store_2addr_b64 v206, v[0:1], v[20:21] offset1:4
	ds_store_2addr_b64 v205, v[2:3], v[22:23] offset1:4
	;; [unrolled: 1-line block ×10, first 2 shown]
	s_and_saveexec_b32 s2, vcc_lo
	s_cbranch_execz .LBB0_15
; %bb.14:
	v_and_or_b32 v2, 0x4f8, v174, v176
	v_fma_f32 v1, v41, 2.0, -v77
	v_fma_f32 v0, v40, 2.0, -v76
	s_delay_alu instid0(VALU_DEP_3)
	v_lshlrev_b32_e32 v2, 3, v2
	ds_store_2addr_b64 v2, v[0:1], v[76:77] offset1:4
.LBB0_15:
	s_or_b32 exec_lo, exec_lo, s2
	v_and_b32_e32 v4, 7, v173
	s_waitcnt lgkmcnt(0)
	s_barrier
	buffer_gl0_inv
	v_lshlrev_b32_e32 v0, 4, v4
	global_load_b128 v[0:3], v0, s[0:1] offset:48
	v_add_nc_u32_e32 v80, 0x1800, v171
	v_add_nc_u32_e32 v81, 0x800, v171
	ds_load_2addr_b64 v[5:8], v80 offset0:16 offset1:72
	ds_load_2addr_b64 v[9:12], v81 offset0:192 offset1:248
	;; [unrolled: 1-line block ×3, first 2 shown]
	s_waitcnt vmcnt(0) lgkmcnt(1)
	v_dual_mul_f32 v31, v12, v1 :: v_dual_add_nc_u32 v82, 0x1000, v171
	v_mul_f32_e32 v26, v5, v3
	v_add_nc_u32_e32 v83, 0x1c00, v171
	v_mul_f32_e32 v25, v6, v3
	v_dual_mul_f32 v27, v8, v3 :: v_dual_mul_f32 v30, v9, v1
	s_delay_alu instid0(VALU_DEP_4)
	v_fmac_f32_e32 v26, v6, v2
	ds_load_2addr_b64 v[17:20], v82 offset0:48 offset1:104
	ds_load_2addr_b64 v[21:24], v83 offset0:112 offset1:168
	v_mul_f32_e32 v28, v7, v3
	v_fma_f32 v25, v5, v2, -v25
	s_waitcnt lgkmcnt(2)
	v_dual_mul_f32 v32, v11, v1 :: v_dual_mul_f32 v33, v13, v3
	v_mul_f32_e32 v6, v16, v3
	v_fma_f32 v27, v7, v2, -v27
	v_fmac_f32_e32 v30, v10, v0
	s_delay_alu instid0(VALU_DEP_4) | instskip(NEXT) | instid1(VALU_DEP_4)
	v_dual_fmac_f32 v32, v12, v0 :: v_dual_fmac_f32 v33, v14, v2
	v_fma_f32 v37, v15, v2, -v6
	v_mul_f32_e32 v29, v10, v1
	v_fma_f32 v31, v11, v0, -v31
	v_mul_f32_e32 v5, v14, v3
	s_delay_alu instid0(VALU_DEP_3) | instskip(NEXT) | instid1(VALU_DEP_2)
	v_fma_f32 v29, v9, v0, -v29
	v_fma_f32 v36, v13, v2, -v5
	s_waitcnt lgkmcnt(1)
	v_mul_f32_e32 v35, v17, v1
	s_waitcnt lgkmcnt(0)
	v_dual_mul_f32 v5, v22, v3 :: v_dual_fmac_f32 v28, v8, v2
	v_mul_f32_e32 v7, v18, v1
	v_dual_mul_f32 v39, v21, v3 :: v_dual_mul_f32 v8, v20, v1
	v_mul_f32_e32 v6, v24, v3
	v_dual_mul_f32 v34, v15, v3 :: v_dual_fmac_f32 v35, v18, v0
	s_delay_alu instid0(VALU_DEP_4)
	v_fma_f32 v40, v17, v0, -v7
	v_fma_f32 v43, v21, v2, -v5
	v_fmac_f32_e32 v39, v22, v2
	v_fma_f32 v41, v19, v0, -v8
	v_fma_f32 v44, v23, v2, -v6
	ds_load_2addr_b64 v[5:8], v82 offset0:160 offset1:216
	s_waitcnt lgkmcnt(0)
	v_dual_fmac_f32 v34, v16, v2 :: v_dual_mul_f32 v9, v6, v1
	v_mul_f32_e32 v51, v5, v1
	v_mul_f32_e32 v10, v8, v1
	;; [unrolled: 1-line block ×4, first 2 shown]
	v_fma_f32 v52, v5, v0, -v9
	v_fmac_f32_e32 v51, v6, v0
	v_fma_f32 v53, v7, v0, -v10
	v_fmac_f32_e32 v54, v8, v0
	ds_load_2addr_b64 v[5:8], v81 offset0:80 offset1:136
	s_waitcnt lgkmcnt(0)
	v_dual_mul_f32 v42, v23, v3 :: v_dual_mul_f32 v9, v8, v1
	v_mul_f32_e32 v12, v7, v1
	s_delay_alu instid0(VALU_DEP_2) | instskip(NEXT) | instid1(VALU_DEP_2)
	v_fma_f32 v11, v7, v0, -v9
	v_fmac_f32_e32 v12, v8, v0
	ds_load_2addr_b64 v[7:10], v171 offset1:56
	v_fmac_f32_e32 v38, v20, v0
	s_waitcnt lgkmcnt(0)
	v_dual_add_f32 v13, v8, v12 :: v_dual_add_nc_u32 v84, 0x400, v171
	s_delay_alu instid0(VALU_DEP_1) | instskip(NEXT) | instid1(VALU_DEP_1)
	v_dual_add_f32 v20, v13, v26 :: v_dual_add_f32 v13, v7, v11
	v_dual_fmac_f32 v42, v24, v2 :: v_dual_add_f32 v19, v13, v25
	v_add_f32_e32 v13, v11, v25
	v_sub_f32_e32 v25, v11, v25
	v_lshrrev_b32_e32 v11, 3, v173
	v_sub_f32_e32 v55, v12, v26
	s_delay_alu instid0(VALU_DEP_4) | instskip(SKIP_1) | instid1(VALU_DEP_4)
	v_fma_f32 v7, -0.5, v13, v7
	v_add_f32_e32 v12, v12, v26
	v_mul_u32_u24_e32 v11, 24, v11
	s_delay_alu instid0(VALU_DEP_2) | instskip(NEXT) | instid1(VALU_DEP_2)
	v_fma_f32 v8, -0.5, v12, v8
	v_or_b32_e32 v11, v11, v4
	s_delay_alu instid0(VALU_DEP_2) | instskip(SKIP_1) | instid1(VALU_DEP_3)
	v_fmamk_f32 v22, v25, 0xbf5db3d7, v8
	v_fmamk_f32 v21, v55, 0x3f5db3d7, v7
	v_lshlrev_b32_e32 v207, 3, v11
	v_fmac_f32_e32 v7, 0xbf5db3d7, v55
	v_fmac_f32_e32 v8, 0x3f5db3d7, v25
	ds_load_b64 v[23:24], v171 offset:8960
	ds_load_2addr_b64 v[11:14], v171 offset0:112 offset1:168
	ds_load_2addr_b64 v[15:18], v84 offset0:96 offset1:152
	s_waitcnt lgkmcnt(0)
	s_barrier
	buffer_gl0_inv
	ds_store_2addr_b64 v207, v[19:20], v[21:22] offset1:8
	v_add_f32_e32 v19, v30, v28
	ds_store_b64 v207, v[7:8] offset:128
	v_add_f32_e32 v7, v10, v30
	v_dual_sub_f32 v21, v30, v28 :: v_dual_add_f32 v20, v29, v27
	v_sub_f32_e32 v22, v29, v27
	s_delay_alu instid0(VALU_DEP_3) | instskip(NEXT) | instid1(VALU_DEP_3)
	v_dual_add_f32 v8, v7, v28 :: v_dual_add_f32 v7, v9, v29
	v_fma_f32 v9, -0.5, v20, v9
	v_fmac_f32_e32 v10, -0.5, v19
	v_lshrrev_b32_e32 v19, 3, v46
	s_delay_alu instid0(VALU_DEP_1) | instskip(NEXT) | instid1(VALU_DEP_1)
	v_mul_u32_u24_e32 v19, 24, v19
	v_or_b32_e32 v19, v19, v4
	s_delay_alu instid0(VALU_DEP_1)
	v_dual_fmamk_f32 v19, v21, 0x3f5db3d7, v9 :: v_dual_lshlrev_b32 v208, 3, v19
	v_dual_add_f32 v7, v7, v27 :: v_dual_fmamk_f32 v20, v22, 0xbf5db3d7, v10
	v_fmac_f32_e32 v9, 0xbf5db3d7, v21
	v_sub_f32_e32 v21, v41, v43
	ds_store_2addr_b64 v208, v[7:8], v[19:20] offset1:8
	v_dual_add_f32 v7, v12, v32 :: v_dual_fmac_f32 v10, 0x3f5db3d7, v22
	v_dual_sub_f32 v19, v32, v33 :: v_dual_sub_f32 v20, v31, v36
	v_sub_f32_e32 v22, v51, v42
	s_delay_alu instid0(VALU_DEP_3) | instskip(SKIP_3) | instid1(VALU_DEP_1)
	v_add_f32_e32 v8, v7, v33
	v_add_f32_e32 v7, v11, v31
	ds_store_b64 v208, v[9:10] offset:128
	v_dual_add_f32 v10, v32, v33 :: v_dual_add_f32 v7, v7, v36
	v_fma_f32 v10, -0.5, v10, v12
	s_delay_alu instid0(VALU_DEP_1) | instskip(NEXT) | instid1(VALU_DEP_1)
	v_dual_add_f32 v9, v31, v36 :: v_dual_fmamk_f32 v12, v20, 0xbf5db3d7, v10
	v_fma_f32 v9, -0.5, v9, v11
	v_lshrrev_b32_e32 v11, 3, v45
	s_delay_alu instid0(VALU_DEP_1) | instskip(NEXT) | instid1(VALU_DEP_1)
	v_mul_u32_u24_e32 v11, 24, v11
	v_or_b32_e32 v11, v11, v4
	s_delay_alu instid0(VALU_DEP_1)
	v_lshlrev_b32_e32 v209, 3, v11
	v_fmamk_f32 v11, v19, 0x3f5db3d7, v9
	v_fmac_f32_e32 v9, 0xbf5db3d7, v19
	v_fmac_f32_e32 v10, 0x3f5db3d7, v20
	ds_store_2addr_b64 v209, v[7:8], v[11:12] offset1:8
	v_add_f32_e32 v7, v14, v35
	ds_store_b64 v209, v[9:10] offset:128
	v_dual_add_f32 v10, v40, v37 :: v_dual_sub_f32 v11, v35, v34
	v_dual_sub_f32 v12, v40, v37 :: v_dual_add_f32 v9, v35, v34
	v_dual_add_f32 v8, v7, v34 :: v_dual_add_f32 v7, v13, v40
	s_delay_alu instid0(VALU_DEP_3) | instskip(NEXT) | instid1(VALU_DEP_3)
	v_fma_f32 v13, -0.5, v10, v13
	v_fmac_f32_e32 v14, -0.5, v9
	v_lshrrev_b32_e32 v9, 3, v50
	s_delay_alu instid0(VALU_DEP_1) | instskip(NEXT) | instid1(VALU_DEP_1)
	v_mul_u32_u24_e32 v9, 24, v9
	v_or_b32_e32 v9, v9, v4
	s_delay_alu instid0(VALU_DEP_1)
	v_dual_fmamk_f32 v9, v11, 0x3f5db3d7, v13 :: v_dual_lshlrev_b32 v210, 3, v9
	v_fmac_f32_e32 v13, 0xbf5db3d7, v11
	v_dual_add_f32 v7, v7, v37 :: v_dual_fmamk_f32 v10, v12, 0xbf5db3d7, v14
	v_dual_fmac_f32 v14, 0x3f5db3d7, v12 :: v_dual_add_f32 v11, v38, v39
	ds_store_2addr_b64 v210, v[7:8], v[9:10] offset1:8
	v_lshrrev_b32_e32 v7, 3, v49
	v_lshrrev_b32_e32 v8, 3, v48
	;; [unrolled: 1-line block ×3, first 2 shown]
	v_fma_f32 v11, -0.5, v11, v16
	ds_store_b64 v210, v[13:14] offset:128
	v_mul_u32_u24_e32 v7, 24, v7
	v_mul_u32_u24_e32 v8, 24, v8
	;; [unrolled: 1-line block ×3, first 2 shown]
	v_dual_mul_f32 v14, v23, v3 :: v_dual_fmamk_f32 v13, v21, 0xbf5db3d7, v11
	s_delay_alu instid0(VALU_DEP_4) | instskip(NEXT) | instid1(VALU_DEP_4)
	v_or_b32_e32 v7, v7, v4
	v_or_b32_e32 v19, v8, v4
	v_mul_f32_e32 v8, v24, v3
	v_or_b32_e32 v4, v9, v4
	v_dual_add_f32 v9, v41, v43 :: v_dual_fmac_f32 v14, v24, v2
	v_lshlrev_b32_e32 v211, 3, v7
	s_delay_alu instid0(VALU_DEP_2)
	v_fma_f32 v10, -0.5, v9, v15
	v_add_f32_e32 v9, v15, v41
	v_fma_f32 v20, v23, v2, -v8
	v_add_f32_e32 v8, v16, v38
	v_sub_f32_e32 v16, v38, v39
	v_add_f32_e32 v15, v6, v54
	v_add_f32_e32 v7, v9, v43
	s_delay_alu instid0(VALU_DEP_4) | instskip(NEXT) | instid1(VALU_DEP_4)
	v_dual_add_f32 v9, v51, v42 :: v_dual_add_f32 v8, v8, v39
	v_fmamk_f32 v12, v16, 0x3f5db3d7, v10
	v_sub_f32_e32 v24, v54, v14
	v_sub_f32_e32 v26, v53, v20
	;; [unrolled: 1-line block ×3, first 2 shown]
	v_add_f32_e32 v25, v53, v20
	ds_store_2addr_b64 v211, v[7:8], v[12:13] offset1:8
	v_dual_add_f32 v8, v17, v52 :: v_dual_add_f32 v7, v18, v51
	v_dual_add_f32 v15, v15, v14 :: v_dual_fmac_f32 v18, -0.5, v9
	v_dual_fmac_f32 v11, 0x3f5db3d7, v21 :: v_dual_lshlrev_b32 v212, 3, v4
	s_delay_alu instid0(VALU_DEP_3) | instskip(SKIP_3) | instid1(VALU_DEP_3)
	v_dual_add_f32 v12, v8, v44 :: v_dual_add_f32 v13, v7, v42
	v_dual_add_f32 v7, v52, v44 :: v_dual_add_f32 v8, v54, v14
	v_dual_add_f32 v14, v5, v53 :: v_dual_lshlrev_b32 v213, 3, v19
	v_fma_f32 v5, -0.5, v25, v5
	v_fma_f32 v17, -0.5, v7, v17
	s_delay_alu instid0(VALU_DEP_4) | instskip(SKIP_2) | instid1(VALU_DEP_4)
	v_dual_fmac_f32 v6, -0.5, v8 :: v_dual_and_b32 v7, 0xff, v173
	v_fmac_f32_e32 v10, 0xbf5db3d7, v16
	v_add_f32_e32 v14, v14, v20
	v_fmamk_f32 v19, v22, 0x3f5db3d7, v17
	v_fmamk_f32 v20, v23, 0xbf5db3d7, v18
	v_mul_lo_u16 v7, 0xab, v7
	v_fmac_f32_e32 v17, 0xbf5db3d7, v22
	v_dual_fmac_f32 v18, 0x3f5db3d7, v23 :: v_dual_fmamk_f32 v21, v24, 0x3f5db3d7, v5
	v_fmamk_f32 v22, v26, 0xbf5db3d7, v6
	s_delay_alu instid0(VALU_DEP_4)
	v_lshrrev_b16 v41, 12, v7
	v_fmac_f32_e32 v5, 0xbf5db3d7, v24
	v_fmac_f32_e32 v6, 0x3f5db3d7, v26
	ds_store_b64 v211, v[10:11] offset:128
	ds_store_2addr_b64 v213, v[12:13], v[19:20] offset1:8
	ds_store_b64 v213, v[17:18] offset:128
	ds_store_2addr_b64 v212, v[14:15], v[21:22] offset1:8
	ds_store_b64 v212, v[5:6] offset:128
	v_and_b32_e32 v10, 0xff, v46
	v_mul_lo_u16 v7, v41, 24
	s_waitcnt lgkmcnt(0)
	s_barrier
	buffer_gl0_inv
	v_mul_lo_u16 v10, 0xab, v10
	v_sub_nc_u16 v7, v173, v7
	v_and_b32_e32 v41, 0xffff, v41
	s_delay_alu instid0(VALU_DEP_3)
	v_lshrrev_b16 v40, 12, v10
	ds_load_2addr_b64 v[10:13], v81 offset0:80 offset1:136
	v_and_b32_e32 v42, 0xff, v7
	v_mul_u32_u24_e32 v41, 0xa8, v41
	v_mul_lo_u16 v14, v40, 24
	v_and_b32_e32 v40, 0xffff, v40
	s_delay_alu instid0(VALU_DEP_4) | instskip(NEXT) | instid1(VALU_DEP_3)
	v_mad_u64_u32 v[8:9], null, v42, 48, s[0:1]
	v_sub_nc_u16 v14, v46, v14
	s_delay_alu instid0(VALU_DEP_3)
	v_mul_u32_u24_e32 v40, 0xa8, v40
	s_clause 0x1
	global_load_b128 v[4:7], v[8:9], off offset:176
	global_load_b128 v[32:35], v[8:9], off offset:192
	v_and_b32_e32 v43, 0xff, v14
	global_load_b128 v[24:27], v[8:9], off offset:208
	s_waitcnt vmcnt(2) lgkmcnt(0)
	v_mul_f32_e32 v14, v11, v7
	v_mad_u64_u32 v[18:19], null, v43, 48, s[0:1]
	s_delay_alu instid0(VALU_DEP_2) | instskip(SKIP_4) | instid1(VALU_DEP_1)
	v_fma_f32 v53, v10, v6, -v14
	ds_load_2addr_b64 v[14:17], v82 offset0:160 offset1:216
	global_load_b128 v[20:23], v[18:19], off offset:176
	s_waitcnt vmcnt(2) lgkmcnt(0)
	v_mul_f32_e32 v57, v14, v35
	v_dual_mul_f32 v52, v10, v7 :: v_dual_fmac_f32 v57, v15, v34
	s_delay_alu instid0(VALU_DEP_1) | instskip(SKIP_3) | instid1(VALU_DEP_2)
	v_fmac_f32_e32 v52, v11, v6
	s_waitcnt vmcnt(0)
	v_mul_f32_e32 v8, v13, v23
	v_mul_f32_e32 v55, v12, v23
	v_fma_f32 v54, v12, v22, -v8
	s_delay_alu instid0(VALU_DEP_2) | instskip(SKIP_1) | instid1(VALU_DEP_2)
	v_dual_mul_f32 v8, v15, v35 :: v_dual_fmac_f32 v55, v13, v22
	v_add_lshl_u32 v214, v41, v42, 3
	v_fma_f32 v56, v14, v34, -v8
	s_clause 0x1
	global_load_b128 v[12:15], v[18:19], off offset:192
	global_load_b128 v[8:11], v[18:19], off offset:208
	ds_load_2addr_b64 v[36:39], v84 offset0:96 offset1:152
	s_waitcnt lgkmcnt(0)
	v_mul_f32_e32 v67, v36, v21
	s_delay_alu instid0(VALU_DEP_1) | instskip(SKIP_3) | instid1(VALU_DEP_2)
	v_fmac_f32_e32 v67, v37, v20
	s_waitcnt vmcnt(1)
	v_mul_f32_e32 v18, v17, v15
	v_mul_f32_e32 v59, v16, v15
	v_fma_f32 v58, v16, v14, -v18
	s_delay_alu instid0(VALU_DEP_2)
	v_fmac_f32_e32 v59, v17, v14
	ds_load_2addr_b64 v[16:19], v83 offset0:112 offset1:168
	s_waitcnt lgkmcnt(0)
	v_mul_f32_e32 v28, v17, v27
	v_mul_f32_e32 v61, v16, v27
	s_waitcnt vmcnt(0)
	v_mul_f32_e32 v63, v18, v11
	s_delay_alu instid0(VALU_DEP_3) | instskip(SKIP_1) | instid1(VALU_DEP_1)
	v_fma_f32 v60, v16, v26, -v28
	v_mul_f32_e32 v16, v19, v11
	v_fma_f32 v62, v18, v10, -v16
	v_dual_fmac_f32 v61, v17, v26 :: v_dual_and_b32 v16, 0xff, v45
	s_delay_alu instid0(VALU_DEP_1) | instskip(NEXT) | instid1(VALU_DEP_1)
	v_mul_lo_u16 v16, 0xab, v16
	v_lshrrev_b16 v64, 12, v16
	s_delay_alu instid0(VALU_DEP_1) | instskip(NEXT) | instid1(VALU_DEP_1)
	v_mul_lo_u16 v16, v64, 24
	v_sub_nc_u16 v16, v45, v16
	s_delay_alu instid0(VALU_DEP_1) | instskip(SKIP_1) | instid1(VALU_DEP_2)
	v_dual_mul_f32 v16, v37, v21 :: v_dual_and_b32 v65, 0xff, v16
	v_fmac_f32_e32 v63, v19, v10
	v_mad_u64_u32 v[48:49], null, v65, 48, s[0:1]
	s_delay_alu instid0(VALU_DEP_3)
	v_fma_f32 v66, v36, v20, -v16
	s_clause 0x1
	global_load_b128 v[16:19], v[48:49], off offset:176
	global_load_b128 v[28:31], v[48:49], off offset:192
	v_add_f32_e32 v103, v66, v62
	v_add_f32_e32 v107, v67, v63
	ds_load_b64 v[50:51], v171 offset:8960
	s_waitcnt vmcnt(1)
	v_mul_f32_e32 v36, v39, v17
	v_mul_f32_e32 v69, v38, v17
	s_delay_alu instid0(VALU_DEP_2) | instskip(NEXT) | instid1(VALU_DEP_2)
	v_fma_f32 v68, v38, v16, -v36
	v_fmac_f32_e32 v69, v39, v16
	ds_load_2addr_b64 v[36:39], v81 offset0:192 offset1:248
	s_waitcnt lgkmcnt(0)
	v_dual_mul_f32 v44, v39, v33 :: v_dual_mul_f32 v73, v36, v19
	v_mul_f32_e32 v71, v38, v33
	s_delay_alu instid0(VALU_DEP_2) | instskip(NEXT) | instid1(VALU_DEP_2)
	v_fma_f32 v70, v38, v32, -v44
	v_dual_mul_f32 v38, v37, v19 :: v_dual_fmac_f32 v71, v39, v32
	s_delay_alu instid0(VALU_DEP_4) | instskip(NEXT) | instid1(VALU_DEP_3)
	v_fmac_f32_e32 v73, v37, v18
	v_add_f32_e32 v97, v70, v56
	s_delay_alu instid0(VALU_DEP_3)
	v_fma_f32 v72, v36, v18, -v38
	ds_load_2addr_b64 v[36:39], v82 offset0:48 offset1:104
	s_waitcnt lgkmcnt(0)
	v_dual_sub_f32 v41, v56, v70 :: v_dual_mul_f32 v44, v37, v13
	v_mul_f32_e32 v75, v36, v13
	s_waitcnt vmcnt(0)
	v_mul_f32_e32 v79, v38, v29
	s_delay_alu instid0(VALU_DEP_3) | instskip(NEXT) | instid1(VALU_DEP_3)
	v_fma_f32 v74, v36, v12, -v44
	v_dual_mul_f32 v36, v39, v29 :: v_dual_fmac_f32 v75, v37, v12
	s_delay_alu instid0(VALU_DEP_3) | instskip(NEXT) | instid1(VALU_DEP_3)
	v_fmac_f32_e32 v79, v39, v28
	v_add_f32_e32 v105, v74, v58
	s_delay_alu instid0(VALU_DEP_3)
	v_fma_f32 v78, v38, v28, -v36
	ds_load_2addr_b64 v[36:39], v80 offset0:16 offset1:72
	s_waitcnt lgkmcnt(0)
	v_mul_f32_e32 v44, v39, v25
	v_mul_f32_e32 v86, v38, v25
	v_dual_mul_f32 v88, v36, v31 :: v_dual_add_f32 v101, v71, v57
	v_add_f32_e32 v109, v75, v59
	s_delay_alu instid0(VALU_DEP_4)
	v_fma_f32 v85, v38, v24, -v44
	ds_load_2addr_b64 v[44:47], v80 offset0:128 offset1:184
	v_fmac_f32_e32 v88, v37, v30
	v_mul_f32_e32 v38, v37, v31
	v_fmac_f32_e32 v86, v39, v24
	v_add_f32_e32 v96, v53, v85
	v_sub_f32_e32 v53, v53, v85
	v_add_f32_e32 v117, v79, v88
	v_fma_f32 v87, v36, v30, -v38
	v_add_f32_e32 v100, v52, v86
	s_delay_alu instid0(VALU_DEP_4) | instskip(SKIP_1) | instid1(VALU_DEP_3)
	v_dual_sub_f32 v52, v52, v86 :: v_dual_add_f32 v85, v41, v53
	s_waitcnt lgkmcnt(0)
	v_dual_add_f32 v113, v78, v87 :: v_dual_mul_f32 v36, v45, v9
	v_mul_f32_e32 v90, v44, v9
	s_delay_alu instid0(VALU_DEP_2)
	v_fma_f32 v89, v44, v8, -v36
	global_load_b128 v[36:39], v[48:49], off offset:208
	v_fmac_f32_e32 v90, v45, v8
	s_waitcnt vmcnt(0)
	v_mul_f32_e32 v44, v47, v37
	v_dual_mul_f32 v92, v46, v37 :: v_dual_mul_f32 v111, v51, v39
	s_delay_alu instid0(VALU_DEP_2) | instskip(NEXT) | instid1(VALU_DEP_2)
	v_fma_f32 v91, v46, v36, -v44
	v_fmac_f32_e32 v92, v47, v36
	ds_load_2addr_b64 v[44:47], v171 offset0:112 offset1:168
	v_fma_f32 v111, v50, v38, -v111
	v_mul_f32_e32 v50, v50, v39
	v_add_f32_e32 v116, v73, v92
	s_delay_alu instid0(VALU_DEP_2) | instskip(NEXT) | instid1(VALU_DEP_1)
	v_dual_fmac_f32 v50, v51, v38 :: v_dual_add_f32 v51, v68, v111
	v_add_f32_e32 v115, v69, v50
	s_delay_alu instid0(VALU_DEP_1) | instskip(SKIP_3) | instid1(VALU_DEP_3)
	v_add_f32_e32 v118, v116, v115
	s_waitcnt lgkmcnt(0)
	v_mul_f32_e32 v48, v47, v5
	v_mul_f32_e32 v94, v46, v5
	v_add_f32_e32 v118, v117, v118
	v_add_f32_e32 v104, v54, v89
	s_delay_alu instid0(VALU_DEP_4) | instskip(NEXT) | instid1(VALU_DEP_3)
	v_fma_f32 v93, v46, v4, -v48
	v_dual_fmac_f32 v94, v47, v4 :: v_dual_add_f32 v45, v45, v118
	s_delay_alu instid0(VALU_DEP_2) | instskip(NEXT) | instid1(VALU_DEP_2)
	v_add_f32_e32 v95, v93, v60
	v_dual_add_f32 v99, v94, v61 :: v_dual_add_f32 v108, v55, v90
	v_dual_sub_f32 v60, v93, v60 :: v_dual_sub_f32 v61, v94, v61
	s_delay_alu instid0(VALU_DEP_3) | instskip(NEXT) | instid1(VALU_DEP_2)
	v_add_f32_e32 v46, v96, v95
	v_sub_f32_e32 v93, v60, v41
	v_add_f32_e32 v85, v85, v60
	s_delay_alu instid0(VALU_DEP_3) | instskip(SKIP_1) | instid1(VALU_DEP_1)
	v_add_f32_e32 v98, v97, v46
	v_add_f32_e32 v46, v100, v99
	;; [unrolled: 1-line block ×4, first 2 shown]
	s_delay_alu instid0(VALU_DEP_1) | instskip(SKIP_1) | instid1(VALU_DEP_1)
	v_add_f32_e32 v106, v105, v46
	v_add_f32_e32 v46, v108, v107
	;; [unrolled: 1-line block ×3, first 2 shown]
	ds_load_2addr_b64 v[46:49], v171 offset1:56
	s_waitcnt lgkmcnt(0)
	s_barrier
	buffer_gl0_inv
	v_add_f32_e32 v47, v47, v102
	v_add_f32_e32 v46, v46, v98
	;; [unrolled: 1-line block ×3, first 2 shown]
	s_delay_alu instid0(VALU_DEP_3) | instskip(SKIP_1) | instid1(VALU_DEP_1)
	v_dual_add_f32 v49, v49, v110 :: v_dual_fmamk_f32 v102, v102, 0xbf955555, v47
	v_sub_f32_e32 v86, v41, v53
	v_mul_f32_e32 v86, 0xbf08b237, v86
	s_delay_alu instid0(VALU_DEP_1) | instskip(SKIP_3) | instid1(VALU_DEP_3)
	v_fmamk_f32 v169, v93, 0x3eae86e6, v86
	v_sub_f32_e32 v42, v57, v71
	v_dual_add_f32 v112, v72, v91 :: v_dual_sub_f32 v57, v97, v96
	v_dual_sub_f32 v71, v101, v100 :: v_dual_fmamk_f32 v98, v98, 0xbf955555, v46
	v_dual_sub_f32 v56, v95, v97 :: v_dual_sub_f32 v97, v61, v42
	s_delay_alu instid0(VALU_DEP_3) | instskip(SKIP_2) | instid1(VALU_DEP_4)
	v_add_f32_e32 v114, v112, v51
	v_dual_sub_f32 v70, v99, v101 :: v_dual_add_f32 v41, v42, v52
	v_sub_f32_e32 v94, v42, v52
	v_mul_f32_e32 v56, 0x3f4a47b2, v56
	s_delay_alu instid0(VALU_DEP_4) | instskip(NEXT) | instid1(VALU_DEP_4)
	v_dual_add_f32 v114, v113, v114 :: v_dual_fmac_f32 v169, 0x3ee1c552, v85
	v_dual_add_f32 v101, v41, v61 :: v_dual_mul_f32 v70, 0x3f4a47b2, v70
	s_delay_alu instid0(VALU_DEP_4) | instskip(NEXT) | instid1(VALU_DEP_3)
	v_mul_f32_e32 v94, 0xbf08b237, v94
	v_dual_add_f32 v44, v44, v114 :: v_dual_fmamk_f32 v41, v57, 0x3d64c772, v56
	s_delay_alu instid0(VALU_DEP_2) | instskip(NEXT) | instid1(VALU_DEP_2)
	v_fmamk_f32 v170, v97, 0x3eae86e6, v94
	v_add_f32_e32 v215, v41, v98
	v_fmamk_f32 v41, v71, 0x3d64c772, v70
	s_delay_alu instid0(VALU_DEP_3) | instskip(NEXT) | instid1(VALU_DEP_1)
	v_fmac_f32_e32 v170, 0x3ee1c552, v101
	v_dual_add_f32 v216, v41, v102 :: v_dual_add_f32 v41, v170, v215
	s_delay_alu instid0(VALU_DEP_1)
	v_sub_f32_e32 v42, v216, v169
	ds_store_2addr_b64 v214, v[46:47], v[41:42] offset1:24
	v_dual_sub_f32 v41, v96, v95 :: v_dual_sub_f32 v46, v53, v60
	v_sub_f32_e32 v47, v52, v61
	v_mul_f32_e32 v52, 0x3d64c772, v57
	v_sub_f32_e32 v42, v100, v99
	s_delay_alu instid0(VALU_DEP_4) | instskip(SKIP_1) | instid1(VALU_DEP_4)
	v_fma_f32 v53, 0x3f5ff5aa, v46, -v86
	v_mul_f32_e32 v46, 0x3f5ff5aa, v46
	v_fma_f32 v52, 0x3f3bfb3b, v41, -v52
	v_fma_f32 v41, 0xbf3bfb3b, v41, -v56
	;; [unrolled: 1-line block ×3, first 2 shown]
	v_fmac_f32_e32 v53, 0x3ee1c552, v85
	v_fma_f32 v56, 0xbeae86e6, v93, -v46
	v_mul_f32_e32 v46, 0x3f5ff5aa, v47
	s_delay_alu instid0(VALU_DEP_4) | instskip(NEXT) | instid1(VALU_DEP_3)
	v_dual_add_f32 v52, v52, v98 :: v_dual_fmac_f32 v57, 0x3ee1c552, v101
	v_dual_add_f32 v61, v41, v98 :: v_dual_fmac_f32 v56, 0x3ee1c552, v85
	s_delay_alu instid0(VALU_DEP_3) | instskip(SKIP_1) | instid1(VALU_DEP_2)
	v_fma_f32 v60, 0xbeae86e6, v97, -v46
	v_mul_f32_e32 v46, 0x3d64c772, v71
	v_fmac_f32_e32 v60, 0x3ee1c552, v101
	s_delay_alu instid0(VALU_DEP_2) | instskip(SKIP_1) | instid1(VALU_DEP_3)
	v_fma_f32 v46, 0x3f3bfb3b, v42, -v46
	v_fma_f32 v42, 0xbf3bfb3b, v42, -v70
	v_add_f32_e32 v41, v60, v61
	s_delay_alu instid0(VALU_DEP_3) | instskip(NEXT) | instid1(VALU_DEP_3)
	v_add_f32_e32 v71, v46, v102
	v_add_f32_e32 v70, v42, v102
	s_delay_alu instid0(VALU_DEP_2) | instskip(NEXT) | instid1(VALU_DEP_2)
	v_dual_sub_f32 v46, v52, v57 :: v_dual_add_f32 v47, v53, v71
	v_sub_f32_e32 v42, v70, v56
	ds_store_2addr_b64 v214, v[41:42], v[46:47] offset0:48 offset1:72
	v_dual_add_f32 v41, v57, v52 :: v_dual_sub_f32 v42, v71, v53
	v_dual_sub_f32 v46, v61, v60 :: v_dual_add_f32 v47, v56, v70
	v_dual_sub_f32 v52, v103, v105 :: v_dual_sub_f32 v53, v105, v104
	ds_store_2addr_b64 v214, v[41:42], v[46:47] offset0:96 offset1:120
	v_sub_f32_e32 v41, v215, v170
	v_add_lshl_u32 v215, v40, v43, 3
	v_dual_sub_f32 v43, v67, v63 :: v_dual_sub_f32 v46, v54, v89
	v_dual_sub_f32 v47, v55, v90 :: v_dual_add_f32 v42, v169, v216
	v_sub_f32_e32 v40, v58, v74
	v_mul_f32_e32 v52, 0x3f4a47b2, v52
	v_sub_f32_e32 v55, v109, v108
	v_fmamk_f32 v63, v110, 0xbf955555, v49
	ds_store_b64 v214, v[41:42] offset:1152
	v_sub_f32_e32 v42, v66, v62
	v_sub_f32_e32 v57, v40, v46
	v_dual_add_f32 v56, v40, v46 :: v_dual_sub_f32 v41, v59, v75
	v_fmamk_f32 v62, v106, 0xbf955555, v48
	s_delay_alu instid0(VALU_DEP_3) | instskip(NEXT) | instid1(VALU_DEP_3)
	v_dual_sub_f32 v58, v42, v40 :: v_dual_mul_f32 v57, 0xbf08b237, v57
	v_add_f32_e32 v56, v56, v42
	s_delay_alu instid0(VALU_DEP_4) | instskip(SKIP_1) | instid1(VALU_DEP_2)
	v_add_f32_e32 v40, v41, v47
	v_dual_sub_f32 v59, v41, v47 :: v_dual_sub_f32 v60, v43, v41
	v_dual_fmamk_f32 v66, v58, 0x3eae86e6, v57 :: v_dual_add_f32 v61, v40, v43
	s_delay_alu instid0(VALU_DEP_2) | instskip(SKIP_1) | instid1(VALU_DEP_3)
	v_mul_f32_e32 v59, 0xbf08b237, v59
	v_fmamk_f32 v40, v53, 0x3d64c772, v52
	v_fmac_f32_e32 v66, 0x3ee1c552, v56
	v_sub_f32_e32 v54, v107, v109
	v_sub_f32_e32 v43, v47, v43
	v_fmamk_f32 v67, v60, 0x3eae86e6, v59
	v_add_f32_e32 v70, v40, v62
	s_delay_alu instid0(VALU_DEP_4) | instskip(NEXT) | instid1(VALU_DEP_3)
	v_mul_f32_e32 v54, 0x3f4a47b2, v54
	v_fmac_f32_e32 v67, 0x3ee1c552, v61
	s_delay_alu instid0(VALU_DEP_2) | instskip(NEXT) | instid1(VALU_DEP_1)
	v_fmamk_f32 v40, v55, 0x3d64c772, v54
	v_dual_add_f32 v71, v40, v63 :: v_dual_add_f32 v40, v67, v70
	s_delay_alu instid0(VALU_DEP_1) | instskip(SKIP_4) | instid1(VALU_DEP_3)
	v_sub_f32_e32 v41, v71, v66
	ds_store_2addr_b64 v215, v[48:49], v[40:41] offset1:24
	v_fma_f32 v49, 0x3f5ff5aa, v43, -v59
	v_dual_fmamk_f32 v59, v114, 0xbf955555, v44 :: v_dual_sub_f32 v40, v104, v103
	v_sub_f32_e32 v41, v108, v107
	v_dual_fmac_f32 v49, 0x3ee1c552, v61 :: v_dual_sub_f32 v42, v46, v42
	v_mul_f32_e32 v46, 0x3d64c772, v53
	s_delay_alu instid0(VALU_DEP_2) | instskip(SKIP_1) | instid1(VALU_DEP_3)
	v_fma_f32 v47, 0x3f5ff5aa, v42, -v57
	v_mul_f32_e32 v42, 0x3f5ff5aa, v42
	v_fma_f32 v46, 0x3f3bfb3b, v40, -v46
	v_fma_f32 v40, 0xbf3bfb3b, v40, -v52
	s_delay_alu instid0(VALU_DEP_4) | instskip(NEXT) | instid1(VALU_DEP_4)
	v_fmac_f32_e32 v47, 0x3ee1c552, v56
	v_fma_f32 v48, 0xbeae86e6, v58, -v42
	v_mul_f32_e32 v42, 0x3f5ff5aa, v43
	v_add_f32_e32 v46, v46, v62
	s_delay_alu instid0(VALU_DEP_3) | instskip(NEXT) | instid1(VALU_DEP_3)
	v_dual_add_f32 v53, v40, v62 :: v_dual_fmac_f32 v48, 0x3ee1c552, v56
	v_fma_f32 v52, 0xbeae86e6, v60, -v42
	v_mul_f32_e32 v42, 0x3d64c772, v55
	v_fmamk_f32 v60, v118, 0xbf955555, v45
	s_delay_alu instid0(VALU_DEP_3) | instskip(NEXT) | instid1(VALU_DEP_3)
	v_fmac_f32_e32 v52, 0x3ee1c552, v61
	v_fma_f32 v42, 0x3f3bfb3b, v41, -v42
	v_fma_f32 v41, 0xbf3bfb3b, v41, -v54
	s_delay_alu instid0(VALU_DEP_2) | instskip(NEXT) | instid1(VALU_DEP_2)
	v_dual_add_f32 v40, v52, v53 :: v_dual_add_f32 v55, v42, v63
	v_add_f32_e32 v54, v41, v63
	s_delay_alu instid0(VALU_DEP_2) | instskip(NEXT) | instid1(VALU_DEP_2)
	v_dual_sub_f32 v42, v46, v49 :: v_dual_add_f32 v43, v47, v55
	v_sub_f32_e32 v41, v54, v48
	ds_store_2addr_b64 v215, v[40:41], v[42:43] offset0:48 offset1:72
	v_dual_add_f32 v40, v49, v46 :: v_dual_sub_f32 v41, v55, v47
	v_dual_sub_f32 v42, v53, v52 :: v_dual_add_f32 v43, v48, v54
	v_dual_sub_f32 v46, v72, v91 :: v_dual_sub_f32 v47, v73, v92
	v_dual_sub_f32 v48, v51, v113 :: v_dual_sub_f32 v49, v113, v112
	ds_store_2addr_b64 v215, v[40:41], v[42:43] offset0:96 offset1:120
	v_sub_f32_e32 v40, v70, v67
	v_add_f32_e32 v41, v66, v71
	v_dual_sub_f32 v42, v68, v111 :: v_dual_sub_f32 v43, v69, v50
	v_sub_f32_e32 v50, v115, v117
	v_mul_f32_e32 v48, 0x3f4a47b2, v48
	ds_store_b64 v215, v[40:41] offset:1152
	v_dual_sub_f32 v41, v88, v79 :: v_dual_and_b32 v40, 0xffff, v64
	v_sub_f32_e32 v52, v117, v116
	v_mul_f32_e32 v50, 0x3f4a47b2, v50
	s_delay_alu instid0(VALU_DEP_3) | instskip(NEXT) | instid1(VALU_DEP_4)
	v_mul_u32_u24_e32 v40, 0xa8, v40
	v_dual_sub_f32 v56, v41, v47 :: v_dual_sub_f32 v57, v43, v41
	s_delay_alu instid0(VALU_DEP_2) | instskip(SKIP_1) | instid1(VALU_DEP_1)
	v_add_lshl_u32 v216, v40, v65, 3
	v_sub_f32_e32 v40, v87, v78
	v_dual_mul_f32 v56, 0xbf08b237, v56 :: v_dual_add_f32 v53, v40, v46
	v_dual_sub_f32 v54, v40, v46 :: v_dual_sub_f32 v55, v42, v40
	v_add_f32_e32 v40, v41, v47
	s_delay_alu instid0(VALU_DEP_3) | instskip(NEXT) | instid1(VALU_DEP_4)
	v_fmamk_f32 v62, v57, 0x3eae86e6, v56
	v_add_f32_e32 v53, v53, v42
	s_delay_alu instid0(VALU_DEP_4) | instskip(SKIP_3) | instid1(VALU_DEP_4)
	v_mul_f32_e32 v54, 0xbf08b237, v54
	v_sub_f32_e32 v42, v46, v42
	v_add_f32_e32 v58, v40, v43
	v_dual_fmamk_f32 v40, v49, 0x3d64c772, v48 :: v_dual_sub_f32 v43, v47, v43
	v_fmamk_f32 v61, v55, 0x3eae86e6, v54
	s_delay_alu instid0(VALU_DEP_2) | instskip(SKIP_1) | instid1(VALU_DEP_3)
	v_dual_fmac_f32 v62, 0x3ee1c552, v58 :: v_dual_add_f32 v63, v40, v59
	v_fmamk_f32 v40, v52, 0x3d64c772, v50
	v_fmac_f32_e32 v61, 0x3ee1c552, v53
	v_fma_f32 v47, 0x3f5ff5aa, v43, -v56
	s_delay_alu instid0(VALU_DEP_3) | instskip(NEXT) | instid1(VALU_DEP_2)
	v_add_f32_e32 v64, v40, v60
	v_dual_add_f32 v40, v62, v63 :: v_dual_fmac_f32 v47, 0x3ee1c552, v58
	s_delay_alu instid0(VALU_DEP_2)
	v_sub_f32_e32 v41, v64, v61
	ds_store_2addr_b64 v216, v[44:45], v[40:41] offset1:24
	v_fma_f32 v45, 0x3f5ff5aa, v42, -v54
	v_mul_f32_e32 v42, 0x3f5ff5aa, v42
	v_sub_f32_e32 v40, v112, v51
	v_dual_mul_f32 v44, 0x3d64c772, v49 :: v_dual_sub_f32 v41, v116, v115
	s_delay_alu instid0(VALU_DEP_4) | instskip(NEXT) | instid1(VALU_DEP_4)
	v_fmac_f32_e32 v45, 0x3ee1c552, v53
	v_fma_f32 v46, 0xbeae86e6, v55, -v42
	v_mul_f32_e32 v42, 0x3f5ff5aa, v43
	s_delay_alu instid0(VALU_DEP_4) | instskip(SKIP_1) | instid1(VALU_DEP_4)
	v_fma_f32 v44, 0x3f3bfb3b, v40, -v44
	v_fma_f32 v40, 0xbf3bfb3b, v40, -v48
	v_fmac_f32_e32 v46, 0x3ee1c552, v53
	s_delay_alu instid0(VALU_DEP_4) | instskip(SKIP_2) | instid1(VALU_DEP_3)
	v_fma_f32 v48, 0xbeae86e6, v57, -v42
	v_mul_f32_e32 v42, 0x3d64c772, v52
	v_add_f32_e32 v44, v44, v59
	v_dual_add_f32 v49, v40, v59 :: v_dual_fmac_f32 v48, 0x3ee1c552, v58
	s_delay_alu instid0(VALU_DEP_3) | instskip(SKIP_1) | instid1(VALU_DEP_2)
	v_fma_f32 v42, 0x3f3bfb3b, v41, -v42
	v_fma_f32 v41, 0xbf3bfb3b, v41, -v50
	v_dual_add_f32 v40, v48, v49 :: v_dual_add_f32 v51, v42, v60
	s_delay_alu instid0(VALU_DEP_2) | instskip(SKIP_1) | instid1(VALU_DEP_3)
	v_add_f32_e32 v50, v41, v60
	v_sub_f32_e32 v42, v44, v47
	v_add_f32_e32 v43, v45, v51
	s_delay_alu instid0(VALU_DEP_3)
	v_sub_f32_e32 v41, v50, v46
	ds_store_2addr_b64 v216, v[40:41], v[42:43] offset0:48 offset1:72
	v_add_f32_e32 v40, v47, v44
	v_dual_sub_f32 v41, v51, v45 :: v_dual_sub_f32 v42, v49, v48
	v_add_f32_e32 v43, v46, v50
	ds_store_2addr_b64 v216, v[40:41], v[42:43] offset0:96 offset1:120
	v_add_f32_e32 v41, v61, v64
	v_mad_u64_u32 v[60:61], null, v173, 48, s[0:1]
	v_sub_f32_e32 v40, v63, v62
	ds_store_b64 v216, v[40:41] offset:1152
	s_waitcnt lgkmcnt(0)
	s_barrier
	buffer_gl0_inv
	s_clause 0x1
	global_load_b128 v[40:43], v[60:61], off offset:1328
	global_load_b128 v[64:67], v[60:61], off offset:1344
	ds_load_2addr_b64 v[44:47], v81 offset0:80 offset1:136
	s_waitcnt vmcnt(1) lgkmcnt(0)
	v_mul_f32_e32 v48, v45, v43
	v_mul_f32_e32 v92, v44, v43
	s_delay_alu instid0(VALU_DEP_2)
	v_fma_f32 v91, v44, v42, -v48
	s_clause 0x1
	global_load_b128 v[48:51], v[60:61], off offset:4016
	global_load_b128 v[68:71], v[60:61], off offset:1360
	ds_load_2addr_b64 v[52:55], v82 offset0:160 offset1:216
	v_fmac_f32_e32 v92, v45, v42
	s_waitcnt vmcnt(2) lgkmcnt(0)
	v_mul_f32_e32 v94, v52, v67
	s_delay_alu instid0(VALU_DEP_1) | instskip(SKIP_3) | instid1(VALU_DEP_2)
	v_fmac_f32_e32 v94, v53, v66
	s_waitcnt vmcnt(1)
	v_mul_f32_e32 v44, v47, v51
	v_mul_f32_e32 v102, v46, v51
	v_fma_f32 v101, v46, v50, -v44
	v_mul_f32_e32 v44, v53, v67
	s_delay_alu instid0(VALU_DEP_3) | instskip(NEXT) | instid1(VALU_DEP_2)
	v_fmac_f32_e32 v102, v47, v50
	v_fma_f32 v93, v52, v66, -v44
	s_clause 0x1
	global_load_b128 v[56:59], v[60:61], off offset:4032
	global_load_b128 v[44:47], v[60:61], off offset:4048
	ds_load_2addr_b64 v[72:75], v84 offset0:96 offset1:152
	ds_load_2addr_b64 v[85:88], v82 offset0:48 offset1:104
	s_waitcnt lgkmcnt(1)
	v_mul_f32_e32 v108, v72, v49
	s_delay_alu instid0(VALU_DEP_1) | instskip(SKIP_4) | instid1(VALU_DEP_2)
	v_fmac_f32_e32 v108, v73, v48
	s_waitcnt vmcnt(1)
	v_mul_f32_e32 v52, v55, v59
	s_waitcnt lgkmcnt(0)
	v_mul_f32_e32 v114, v85, v57
	v_fma_f32 v103, v54, v58, -v52
	v_mul_f32_e32 v104, v54, v59
	s_delay_alu instid0(VALU_DEP_3) | instskip(NEXT) | instid1(VALU_DEP_2)
	v_fmac_f32_e32 v114, v86, v56
	v_fmac_f32_e32 v104, v55, v58
	ds_load_2addr_b64 v[52:55], v83 offset0:112 offset1:168
	s_waitcnt lgkmcnt(0)
	v_dual_add_f32 v235, v114, v104 :: v_dual_mul_f32 v62, v53, v71
	s_waitcnt vmcnt(0)
	v_mul_f32_e32 v106, v54, v47
	v_mul_f32_e32 v96, v52, v71
	s_delay_alu instid0(VALU_DEP_3) | instskip(SKIP_1) | instid1(VALU_DEP_4)
	v_fma_f32 v95, v52, v70, -v62
	v_mul_f32_e32 v52, v55, v47
	v_fmac_f32_e32 v106, v55, v46
	s_delay_alu instid0(VALU_DEP_2) | instskip(SKIP_1) | instid1(VALU_DEP_3)
	v_fma_f32 v105, v54, v46, -v52
	v_add_co_u32 v52, s0, 0x1000, v60
	v_dual_mul_f32 v54, v73, v49 :: v_dual_add_f32 v233, v108, v106
	v_fmac_f32_e32 v96, v53, v70
	v_add_co_ci_u32_e64 v53, s0, 0, v61, s0
	s_delay_alu instid0(VALU_DEP_3)
	v_fma_f32 v107, v72, v48, -v54
	global_load_b128 v[52:55], v[52:53], off offset:2608
	v_add_f32_e32 v229, v107, v105
	s_waitcnt vmcnt(0)
	v_mul_f32_e32 v62, v75, v53
	v_mul_f32_e32 v110, v74, v53
	s_delay_alu instid0(VALU_DEP_2) | instskip(NEXT) | instid1(VALU_DEP_2)
	v_fma_f32 v109, v74, v52, -v62
	v_fmac_f32_e32 v110, v75, v52
	ds_load_2addr_b64 v[72:75], v81 offset0:192 offset1:248
	s_waitcnt lgkmcnt(0)
	v_mul_f32_e32 v62, v75, v65
	v_mul_f32_e32 v112, v72, v55
	;; [unrolled: 1-line block ×3, first 2 shown]
	s_delay_alu instid0(VALU_DEP_3) | instskip(SKIP_1) | instid1(VALU_DEP_4)
	v_fma_f32 v97, v74, v64, -v62
	v_mul_f32_e32 v62, v73, v55
	v_fmac_f32_e32 v112, v73, v54
	s_delay_alu instid0(VALU_DEP_3) | instskip(NEXT) | instid1(VALU_DEP_3)
	v_dual_fmac_f32 v98, v75, v64 :: v_dual_add_f32 v223, v97, v93
	v_fma_f32 v111, v72, v54, -v62
	v_add_co_u32 v72, s0, 0x1a30, v60
	s_delay_alu instid0(VALU_DEP_1) | instskip(SKIP_3) | instid1(VALU_DEP_3)
	v_add_co_ci_u32_e64 v73, s0, 0, v61, s0
	v_mul_f32_e32 v60, v86, v57
	v_add_f32_e32 v227, v98, v94
	v_dual_sub_f32 v93, v93, v97 :: v_dual_sub_f32 v94, v94, v98
	v_fma_f32 v113, v85, v56, -v60
	s_clause 0x1
	global_load_b128 v[60:63], v[72:73], off offset:16
	global_load_b128 v[72:75], v[72:73], off offset:32
	s_waitcnt vmcnt(1)
	v_dual_add_f32 v231, v113, v103 :: v_dual_mul_f32 v78, v88, v61
	v_mul_f32_e32 v116, v87, v61
	s_delay_alu instid0(VALU_DEP_2) | instskip(NEXT) | instid1(VALU_DEP_2)
	v_fma_f32 v115, v87, v60, -v78
	v_fmac_f32_e32 v116, v88, v60
	ds_load_2addr_b64 v[85:88], v80 offset0:16 offset1:72
	s_waitcnt lgkmcnt(0)
	v_mul_f32_e32 v78, v88, v69
	s_delay_alu instid0(VALU_DEP_1) | instskip(SKIP_1) | instid1(VALU_DEP_2)
	v_fma_f32 v99, v87, v68, -v78
	v_mul_f32_e32 v78, v86, v63
	v_add_f32_e32 v222, v91, v99
	s_delay_alu instid0(VALU_DEP_2) | instskip(NEXT) | instid1(VALU_DEP_2)
	v_fma_f32 v117, v85, v62, -v78
	v_sub_f32_e32 v98, v223, v222
	s_delay_alu instid0(VALU_DEP_2) | instskip(NEXT) | instid1(VALU_DEP_1)
	v_dual_add_f32 v241, v115, v117 :: v_dual_mul_f32 v118, v85, v63
	v_fmac_f32_e32 v118, v86, v62
	s_delay_alu instid0(VALU_DEP_1) | instskip(NEXT) | instid1(VALU_DEP_1)
	v_dual_mul_f32 v100, v87, v69 :: v_dual_add_f32 v245, v116, v118
	v_fmac_f32_e32 v100, v88, v68
	ds_load_2addr_b64 v[85:88], v80 offset0:128 offset1:184
	v_add_f32_e32 v226, v92, v100
	s_waitcnt lgkmcnt(0)
	v_mul_f32_e32 v78, v86, v45
	v_mul_f32_e32 v170, v85, v45
	s_waitcnt vmcnt(0)
	v_mul_f32_e32 v218, v87, v73
	s_delay_alu instid0(VALU_DEP_3) | instskip(SKIP_2) | instid1(VALU_DEP_4)
	v_fma_f32 v169, v85, v44, -v78
	v_mul_f32_e32 v78, v88, v73
	v_fmac_f32_e32 v170, v86, v44
	v_fmac_f32_e32 v218, v88, v72
	s_delay_alu instid0(VALU_DEP_4) | instskip(NEXT) | instid1(VALU_DEP_4)
	v_add_f32_e32 v230, v101, v169
	v_fma_f32 v217, v87, v72, -v78
	ds_load_2addr_b64 v[85:88], v171 offset0:112 offset1:168
	v_add_f32_e32 v234, v102, v170
	v_add_f32_e32 v244, v112, v218
	;; [unrolled: 1-line block ×3, first 2 shown]
	s_waitcnt lgkmcnt(0)
	v_mul_f32_e32 v78, v88, v41
	v_mul_f32_e32 v220, v87, v41
	s_delay_alu instid0(VALU_DEP_2) | instskip(NEXT) | instid1(VALU_DEP_2)
	v_fma_f32 v219, v87, v40, -v78
	v_fmac_f32_e32 v220, v88, v40
	ds_load_2addr_b64 v[87:90], v171 offset1:56
	v_add_f32_e32 v221, v219, v95
	v_add_f32_e32 v225, v220, v96
	v_dual_sub_f32 v95, v219, v95 :: v_dual_sub_f32 v96, v220, v96
	s_delay_alu instid0(VALU_DEP_3) | instskip(SKIP_1) | instid1(VALU_DEP_2)
	v_add_f32_e32 v78, v222, v221
	v_sub_f32_e32 v97, v222, v221
	v_dual_sub_f32 v221, v221, v223 :: v_dual_add_f32 v224, v223, v78
	v_dual_add_f32 v78, v226, v225 :: v_dual_sub_f32 v223, v225, v227
	s_delay_alu instid0(VALU_DEP_1) | instskip(SKIP_1) | instid1(VALU_DEP_1)
	v_add_f32_e32 v228, v227, v78
	s_waitcnt lgkmcnt(0)
	v_dual_add_f32 v78, v230, v229 :: v_dual_add_f32 v79, v88, v228
	s_delay_alu instid0(VALU_DEP_1) | instskip(SKIP_1) | instid1(VALU_DEP_3)
	v_add_f32_e32 v232, v231, v78
	v_add_f32_e32 v78, v234, v233
	v_fmamk_f32 v228, v228, 0xbf955555, v79
	s_delay_alu instid0(VALU_DEP_2) | instskip(SKIP_2) | instid1(VALU_DEP_3)
	v_add_f32_e32 v236, v235, v78
	v_add_f32_e32 v78, v87, v224
	;; [unrolled: 1-line block ×4, first 2 shown]
	ds_load_b64 v[89:90], v171 offset:8960
	s_waitcnt lgkmcnt(0)
	v_dual_fmamk_f32 v224, v224, 0xbf955555, v78 :: v_dual_mul_f32 v237, v90, v75
	v_mul_f32_e32 v238, v89, v75
	s_delay_alu instid0(VALU_DEP_2) | instskip(NEXT) | instid1(VALU_DEP_2)
	v_fma_f32 v237, v89, v74, -v237
	v_fmac_f32_e32 v238, v90, v74
	v_sub_f32_e32 v90, v92, v100
	v_sub_f32_e32 v100, v227, v226
	;; [unrolled: 1-line block ×3, first 2 shown]
	v_add_f32_e32 v239, v109, v237
	v_add_f32_e32 v243, v110, v238
	v_sub_f32_e32 v222, v90, v96
	s_delay_alu instid0(VALU_DEP_3) | instskip(NEXT) | instid1(VALU_DEP_1)
	v_dual_sub_f32 v220, v94, v90 :: v_dual_add_f32 v89, v240, v239
	v_mul_f32_e32 v220, 0xbf08b237, v220
	s_delay_alu instid0(VALU_DEP_2) | instskip(NEXT) | instid1(VALU_DEP_1)
	v_dual_add_f32 v242, v241, v89 :: v_dual_add_f32 v89, v244, v243
	v_add_f32_e32 v85, v85, v242
	s_delay_alu instid0(VALU_DEP_2) | instskip(SKIP_1) | instid1(VALU_DEP_2)
	v_dual_add_f32 v246, v245, v89 :: v_dual_sub_f32 v89, v91, v99
	v_sub_f32_e32 v99, v226, v225
	v_dual_sub_f32 v225, v95, v93 :: v_dual_add_f32 v86, v86, v246
	s_delay_alu instid0(VALU_DEP_3)
	v_sub_f32_e32 v92, v93, v89
	v_sub_f32_e32 v219, v89, v95
	v_add_f32_e32 v91, v93, v89
	v_add_f32_e32 v89, v94, v90
	v_mul_f32_e32 v94, 0x3f5ff5aa, v222
	v_mul_f32_e32 v248, 0xbf08b237, v92
	;; [unrolled: 1-line block ×3, first 2 shown]
	s_delay_alu instid0(VALU_DEP_4) | instskip(SKIP_1) | instid1(VALU_DEP_4)
	v_dual_add_f32 v226, v91, v95 :: v_dual_add_f32 v247, v89, v96
	v_mul_f32_e32 v89, 0x3d64c772, v98
	v_fma_f32 v92, 0x3f5ff5aa, v219, -v248
	v_mul_f32_e32 v219, 0x3f4a47b2, v221
	v_mul_f32_e32 v221, 0x3f4a47b2, v223
	;; [unrolled: 1-line block ×3, first 2 shown]
	v_fma_f32 v96, 0xbeae86e6, v225, -v93
	v_fma_f32 v95, 0xbeae86e6, v227, -v94
	;; [unrolled: 1-line block ×6, first 2 shown]
	v_dual_fmac_f32 v96, 0x3ee1c552, v226 :: v_dual_fmac_f32 v95, 0x3ee1c552, v247
	v_add_f32_e32 v97, v93, v224
	v_add_f32_e32 v99, v94, v228
	v_fma_f32 v91, 0x3f5ff5aa, v222, -v220
	v_fmamk_f32 v222, v225, 0x3eae86e6, v248
	s_delay_alu instid0(VALU_DEP_4) | instskip(NEXT) | instid1(VALU_DEP_4)
	v_dual_fmac_f32 v92, 0x3ee1c552, v226 :: v_dual_add_f32 v93, v95, v97
	v_dual_sub_f32 v94, v99, v96 :: v_dual_sub_f32 v95, v97, v95
	v_dual_add_f32 v96, v96, v99 :: v_dual_fmamk_f32 v99, v227, 0x3eae86e6, v220
	v_fmamk_f32 v97, v98, 0x3d64c772, v219
	v_fmamk_f32 v98, v100, 0x3d64c772, v221
	v_dual_fmac_f32 v222, 0x3ee1c552, v226 :: v_dual_fmac_f32 v91, 0x3ee1c552, v247
	s_delay_alu instid0(VALU_DEP_3) | instskip(NEXT) | instid1(VALU_DEP_3)
	v_dual_fmac_f32 v99, 0x3ee1c552, v247 :: v_dual_add_f32 v100, v97, v224
	v_add_f32_e32 v219, v98, v228
	v_add_f32_e32 v249, v89, v224
	;; [unrolled: 1-line block ×3, first 2 shown]
	s_delay_alu instid0(VALU_DEP_4) | instskip(NEXT) | instid1(VALU_DEP_3)
	v_add_f32_e32 v97, v99, v100
	v_dual_sub_f32 v98, v219, v222 :: v_dual_sub_f32 v89, v249, v91
	s_delay_alu instid0(VALU_DEP_3)
	v_dual_add_f32 v90, v92, v250 :: v_dual_add_f32 v91, v91, v249
	v_dual_sub_f32 v92, v250, v92 :: v_dual_sub_f32 v99, v100, v99
	v_add_f32_e32 v100, v222, v219
	ds_store_b64 v171, v[97:98] offset:1344
	ds_store_b64 v171, v[93:94] offset:2688
	;; [unrolled: 1-line block ×6, first 2 shown]
	ds_store_2addr_b64 v171, v[78:79], v[87:88] offset1:56
	v_sub_f32_e32 v89, v107, v105
	v_dual_sub_f32 v78, v101, v169 :: v_dual_sub_f32 v79, v102, v170
	v_dual_sub_f32 v91, v103, v113 :: v_dual_sub_f32 v92, v104, v114
	v_fmamk_f32 v93, v232, 0xbf955555, v87
	v_fmamk_f32 v94, v236, 0xbf955555, v88
	v_sub_f32_e32 v90, v108, v106
	v_sub_f32_e32 v96, v231, v230
	;; [unrolled: 1-line block ×3, first 2 shown]
	v_add_f32_e32 v87, v91, v78
	v_dual_sub_f32 v88, v91, v78 :: v_dual_sub_f32 v99, v78, v89
	v_add_f32_e32 v78, v92, v79
	v_dual_sub_f32 v100, v92, v79 :: v_dual_sub_f32 v95, v230, v229
	v_sub_f32_e32 v97, v234, v233
	v_sub_f32_e32 v101, v79, v90
	s_delay_alu instid0(VALU_DEP_4) | instskip(NEXT) | instid1(VALU_DEP_4)
	v_dual_add_f32 v103, v78, v90 :: v_dual_mul_f32 v104, 0xbf08b237, v88
	v_mul_f32_e32 v100, 0xbf08b237, v100
	v_dual_mul_f32 v78, 0x3d64c772, v96 :: v_dual_mul_f32 v79, 0x3d64c772, v98
	v_add_f32_e32 v102, v87, v89
	s_delay_alu instid0(VALU_DEP_4) | instskip(NEXT) | instid1(VALU_DEP_4)
	v_fma_f32 v88, 0x3f5ff5aa, v99, -v104
	v_fma_f32 v87, 0x3f5ff5aa, v101, -v100
	s_delay_alu instid0(VALU_DEP_4) | instskip(SKIP_1) | instid1(VALU_DEP_4)
	v_fma_f32 v78, 0x3f3bfb3b, v95, -v78
	v_fma_f32 v79, 0x3f3bfb3b, v97, -v79
	v_dual_sub_f32 v107, v89, v91 :: v_dual_fmac_f32 v88, 0x3ee1c552, v102
	s_delay_alu instid0(VALU_DEP_4) | instskip(NEXT) | instid1(VALU_DEP_3)
	v_fmac_f32_e32 v87, 0x3ee1c552, v103
	v_dual_add_f32 v105, v78, v93 :: v_dual_add_f32 v106, v79, v94
	v_sub_f32_e32 v108, v90, v92
	s_delay_alu instid0(VALU_DEP_4) | instskip(NEXT) | instid1(VALU_DEP_3)
	v_fmamk_f32 v92, v107, 0x3eae86e6, v104
	v_dual_sub_f32 v78, v105, v87 :: v_dual_add_f32 v79, v88, v106
	v_dual_add_f32 v87, v87, v105 :: v_dual_sub_f32 v88, v106, v88
	v_sub_f32_e32 v105, v229, v231
	v_dual_sub_f32 v106, v233, v235 :: v_dual_fmamk_f32 v91, v108, 0x3eae86e6, v100
	v_fmac_f32_e32 v92, 0x3ee1c552, v102
	s_delay_alu instid0(VALU_DEP_2) | instskip(NEXT) | instid1(VALU_DEP_3)
	v_dual_mul_f32 v105, 0x3f4a47b2, v105 :: v_dual_mul_f32 v106, 0x3f4a47b2, v106
	v_fmac_f32_e32 v91, 0x3ee1c552, v103
	s_delay_alu instid0(VALU_DEP_2) | instskip(SKIP_2) | instid1(VALU_DEP_3)
	v_dual_fmamk_f32 v89, v96, 0x3d64c772, v105 :: v_dual_fmamk_f32 v90, v98, 0x3d64c772, v106
	v_fma_f32 v95, 0xbf3bfb3b, v95, -v105
	v_fma_f32 v97, 0xbf3bfb3b, v97, -v106
	v_add_f32_e32 v96, v89, v93
	s_delay_alu instid0(VALU_DEP_3) | instskip(NEXT) | instid1(VALU_DEP_3)
	v_dual_add_f32 v98, v90, v94 :: v_dual_add_f32 v95, v95, v93
	v_add_f32_e32 v97, v97, v94
	s_delay_alu instid0(VALU_DEP_3) | instskip(NEXT) | instid1(VALU_DEP_3)
	v_add_f32_e32 v89, v91, v96
	v_dual_sub_f32 v90, v98, v92 :: v_dual_sub_f32 v91, v96, v91
	v_add_f32_e32 v92, v92, v98
	v_mul_f32_e32 v96, 0x3f5ff5aa, v99
	v_mul_f32_e32 v98, 0x3f5ff5aa, v101
	s_delay_alu instid0(VALU_DEP_2) | instskip(NEXT) | instid1(VALU_DEP_2)
	v_fma_f32 v96, 0xbeae86e6, v107, -v96
	v_fma_f32 v98, 0xbeae86e6, v108, -v98
	s_delay_alu instid0(VALU_DEP_2) | instskip(NEXT) | instid1(VALU_DEP_2)
	v_fmac_f32_e32 v96, 0x3ee1c552, v102
	v_fmac_f32_e32 v98, 0x3ee1c552, v103
	s_delay_alu instid0(VALU_DEP_1)
	v_dual_add_f32 v94, v96, v97 :: v_dual_sub_f32 v93, v95, v98
	v_dual_add_f32 v95, v98, v95 :: v_dual_sub_f32 v96, v97, v96
	ds_store_b64 v171, v[87:88] offset:5824
	ds_store_b64 v171, v[93:94] offset:7168
	;; [unrolled: 1-line block ×5, first 2 shown]
	v_dual_sub_f32 v91, v111, v217 :: v_dual_sub_f32 v78, v117, v115
	v_fmamk_f32 v87, v242, 0xbf955555, v85
	ds_store_b64 v171, v[85:86] offset:896
	v_sub_f32_e32 v85, v109, v237
	v_sub_f32_e32 v93, v239, v241
	v_add_f32_e32 v97, v78, v91
	v_sub_f32_e32 v95, v243, v245
	v_sub_f32_e32 v79, v118, v116
	v_fmamk_f32 v88, v246, 0xbf955555, v86
	s_delay_alu instid0(VALU_DEP_4) | instskip(SKIP_3) | instid1(VALU_DEP_3)
	v_dual_sub_f32 v86, v110, v238 :: v_dual_add_f32 v97, v97, v85
	v_sub_f32_e32 v92, v112, v218
	v_sub_f32_e32 v94, v241, v240
	v_dual_sub_f32 v98, v78, v91 :: v_dual_sub_f32 v99, v85, v78
	v_dual_mul_f32 v93, 0x3f4a47b2, v93 :: v_dual_add_f32 v78, v79, v92
	v_sub_f32_e32 v100, v79, v92
	v_dual_sub_f32 v96, v245, v244 :: v_dual_sub_f32 v101, v86, v79
	s_delay_alu instid0(VALU_DEP_4) | instskip(NEXT) | instid1(VALU_DEP_4)
	v_mul_f32_e32 v98, 0xbf08b237, v98
	v_dual_add_f32 v102, v78, v86 :: v_dual_mul_f32 v95, 0x3f4a47b2, v95
	s_delay_alu instid0(VALU_DEP_4) | instskip(SKIP_1) | instid1(VALU_DEP_4)
	v_mul_f32_e32 v100, 0xbf08b237, v100
	v_fmamk_f32 v78, v94, 0x3d64c772, v93
	v_fmamk_f32 v103, v99, 0x3eae86e6, v98
	v_dual_sub_f32 v91, v91, v85 :: v_dual_sub_f32 v92, v92, v86
	s_delay_alu instid0(VALU_DEP_3) | instskip(SKIP_1) | instid1(VALU_DEP_4)
	v_dual_fmamk_f32 v104, v101, 0x3eae86e6, v100 :: v_dual_add_f32 v105, v78, v87
	v_fmamk_f32 v78, v96, 0x3d64c772, v95
	v_fmac_f32_e32 v103, 0x3ee1c552, v97
	s_delay_alu instid0(VALU_DEP_4) | instskip(NEXT) | instid1(VALU_DEP_4)
	v_fma_f32 v86, 0x3f5ff5aa, v91, -v98
	v_fmac_f32_e32 v104, 0x3ee1c552, v102
	v_fma_f32 v85, 0x3f5ff5aa, v92, -v100
	v_dual_add_f32 v106, v78, v88 :: v_dual_mul_f32 v91, 0x3f5ff5aa, v91
	v_mul_f32_e32 v92, 0x3f5ff5aa, v92
	s_delay_alu instid0(VALU_DEP_4) | instskip(NEXT) | instid1(VALU_DEP_3)
	v_add_f32_e32 v78, v104, v105
	v_dual_fmac_f32 v86, 0x3ee1c552, v97 :: v_dual_sub_f32 v79, v106, v103
	s_delay_alu instid0(VALU_DEP_4) | instskip(NEXT) | instid1(VALU_DEP_4)
	v_fma_f32 v91, 0xbeae86e6, v99, -v91
	v_fma_f32 v92, 0xbeae86e6, v101, -v92
	v_fmac_f32_e32 v85, 0x3ee1c552, v102
	v_sub_f32_e32 v169, v105, v104
	ds_store_2addr_b64 v84, v[89:90], v[78:79] offset0:96 offset1:152
	v_sub_f32_e32 v89, v240, v239
	v_sub_f32_e32 v90, v244, v243
	v_dual_mul_f32 v78, 0x3d64c772, v94 :: v_dual_mul_f32 v79, 0x3d64c772, v96
	v_dual_fmac_f32 v91, 0x3ee1c552, v97 :: v_dual_fmac_f32 v92, 0x3ee1c552, v102
	v_add_f32_e32 v170, v103, v106
	s_delay_alu instid0(VALU_DEP_3) | instskip(NEXT) | instid1(VALU_DEP_4)
	v_fma_f32 v78, 0x3f3bfb3b, v89, -v78
	v_fma_f32 v79, 0x3f3bfb3b, v90, -v79
	;; [unrolled: 1-line block ×4, first 2 shown]
	s_delay_alu instid0(VALU_DEP_4) | instskip(NEXT) | instid1(VALU_DEP_3)
	v_add_f32_e32 v94, v78, v87
	v_dual_add_f32 v96, v79, v88 :: v_dual_add_f32 v89, v89, v87
	s_delay_alu instid0(VALU_DEP_3) | instskip(NEXT) | instid1(VALU_DEP_3)
	v_add_f32_e32 v90, v90, v88
	v_sub_f32_e32 v78, v94, v85
	s_delay_alu instid0(VALU_DEP_3) | instskip(NEXT) | instid1(VALU_DEP_3)
	v_add_f32_e32 v79, v86, v96
	v_dual_add_f32 v87, v92, v89 :: v_dual_sub_f32 v88, v90, v91
	v_add_f32_e32 v85, v85, v94
	v_dual_sub_f32 v86, v96, v86 :: v_dual_sub_f32 v89, v89, v92
	v_add_f32_e32 v90, v91, v90
	ds_store_b64 v171, v[87:88] offset:3584
	ds_store_b64 v171, v[78:79] offset:4928
	;; [unrolled: 1-line block ×4, first 2 shown]
	v_lshlrev_b32_e32 v78, 3, v173
	ds_store_b64 v171, v[169:170] offset:8960
	s_waitcnt lgkmcnt(0)
	s_barrier
	buffer_gl0_inv
	v_add_co_u32 v223, s0, s12, v78
	s_delay_alu instid0(VALU_DEP_1) | instskip(NEXT) | instid1(VALU_DEP_2)
	v_add_co_ci_u32_e64 v224, null, s13, 0, s0
	v_add_co_u32 v78, s0, 0x2000, v223
	s_delay_alu instid0(VALU_DEP_1) | instskip(SKIP_1) | instid1(VALU_DEP_1)
	v_add_co_ci_u32_e64 v79, s0, 0, v224, s0
	v_add_co_u32 v91, s0, 0x3000, v223
	v_add_co_ci_u32_e64 v92, s0, 0, v224, s0
	global_load_b64 v[89:90], v[78:79], off offset:1216
	v_add_co_u32 v78, s0, 0x24c0, v223
	s_delay_alu instid0(VALU_DEP_1)
	v_add_co_ci_u32_e64 v79, s0, 0, v224, s0
	s_clause 0x2
	global_load_b64 v[93:94], v[91:92], off offset:1824
	global_load_b64 v[95:96], v[91:92], off offset:2272
	;; [unrolled: 1-line block ×3, first 2 shown]
	ds_load_2addr_b64 v[85:88], v171 offset1:56
	s_waitcnt vmcnt(3) lgkmcnt(0)
	v_mul_f32_e32 v99, v86, v90
	v_mul_f32_e32 v100, v85, v90
	s_delay_alu instid0(VALU_DEP_2) | instskip(NEXT) | instid1(VALU_DEP_2)
	v_fma_f32 v99, v85, v89, -v99
	v_fmac_f32_e32 v100, v86, v89
	s_clause 0x3
	global_load_b64 v[85:86], v[78:79], off offset:448
	global_load_b64 v[89:90], v[78:79], off offset:896
	;; [unrolled: 1-line block ×4, first 2 shown]
	ds_store_b64 v171, v[99:100]
	s_waitcnt vmcnt(3)
	v_mul_f32_e32 v105, v88, v86
	v_mul_f32_e32 v106, v87, v86
	s_delay_alu instid0(VALU_DEP_2) | instskip(NEXT) | instid1(VALU_DEP_2)
	v_fma_f32 v105, v87, v85, -v105
	v_fmac_f32_e32 v106, v88, v85
	ds_load_2addr_b64 v[85:88], v82 offset0:76 offset1:132
	s_waitcnt lgkmcnt(0)
	v_mul_f32_e32 v99, v86, v94
	v_mul_f32_e32 v100, v85, v94
	v_mul_f32_e32 v94, v87, v96
	s_delay_alu instid0(VALU_DEP_3) | instskip(NEXT) | instid1(VALU_DEP_3)
	v_fma_f32 v99, v85, v93, -v99
	v_dual_mul_f32 v85, v88, v96 :: v_dual_fmac_f32 v100, v86, v93
	s_delay_alu instid0(VALU_DEP_3) | instskip(NEXT) | instid1(VALU_DEP_2)
	v_fmac_f32_e32 v94, v88, v95
	v_fma_f32 v93, v87, v95, -v85
	ds_load_2addr_b64 v[85:88], v171 offset0:112 offset1:168
	s_waitcnt vmcnt(2) lgkmcnt(0)
	v_mul_f32_e32 v95, v86, v90
	v_mul_f32_e32 v96, v85, v90
	s_waitcnt vmcnt(1)
	v_mul_f32_e32 v108, v87, v102
	s_delay_alu instid0(VALU_DEP_3) | instskip(NEXT) | instid1(VALU_DEP_3)
	v_fma_f32 v95, v85, v89, -v95
	v_dual_mul_f32 v85, v88, v102 :: v_dual_fmac_f32 v96, v86, v89
	s_delay_alu instid0(VALU_DEP_3) | instskip(NEXT) | instid1(VALU_DEP_2)
	v_fmac_f32_e32 v108, v88, v101
	v_fma_f32 v107, v87, v101, -v85
	s_clause 0x3
	global_load_b64 v[89:90], v[91:92], off offset:2720
	global_load_b64 v[101:102], v[91:92], off offset:3168
	;; [unrolled: 1-line block ×4, first 2 shown]
	ds_load_2addr_b64 v[85:88], v82 offset0:188 offset1:244
	s_waitcnt vmcnt(3) lgkmcnt(0)
	v_mul_f32_e32 v111, v86, v90
	v_mul_f32_e32 v112, v85, v90
	s_waitcnt vmcnt(2)
	v_mul_f32_e32 v114, v87, v102
	s_delay_alu instid0(VALU_DEP_3) | instskip(NEXT) | instid1(VALU_DEP_3)
	v_fma_f32 v111, v85, v89, -v111
	v_dual_mul_f32 v85, v88, v102 :: v_dual_fmac_f32 v112, v86, v89
	s_delay_alu instid0(VALU_DEP_3) | instskip(NEXT) | instid1(VALU_DEP_2)
	v_fmac_f32_e32 v114, v88, v101
	v_fma_f32 v113, v87, v101, -v85
	ds_load_2addr_b64 v[85:88], v84 offset0:96 offset1:152
	s_waitcnt lgkmcnt(0)
	v_mul_f32_e32 v89, v86, v104
	v_mul_f32_e32 v102, v85, v104
	s_delay_alu instid0(VALU_DEP_2) | instskip(NEXT) | instid1(VALU_DEP_2)
	v_fma_f32 v101, v85, v103, -v89
	v_fmac_f32_e32 v102, v86, v103
	s_clause 0x3
	global_load_b64 v[85:86], v[78:79], off offset:2240
	global_load_b64 v[89:90], v[78:79], off offset:2688
	;; [unrolled: 1-line block ×4, first 2 shown]
	s_waitcnt vmcnt(3)
	v_mul_f32_e32 v117, v88, v86
	v_mul_f32_e32 v118, v87, v86
	s_delay_alu instid0(VALU_DEP_2) | instskip(NEXT) | instid1(VALU_DEP_2)
	v_fma_f32 v117, v87, v85, -v117
	v_fmac_f32_e32 v118, v88, v85
	ds_load_2addr_b64 v[85:88], v80 offset0:44 offset1:100
	s_waitcnt lgkmcnt(0)
	v_mul_f32_e32 v217, v86, v110
	v_mul_f32_e32 v218, v85, v110
	;; [unrolled: 1-line block ×3, first 2 shown]
	s_delay_alu instid0(VALU_DEP_3) | instskip(NEXT) | instid1(VALU_DEP_3)
	v_fma_f32 v217, v85, v109, -v217
	v_dual_mul_f32 v85, v88, v92 :: v_dual_fmac_f32 v218, v86, v109
	s_delay_alu instid0(VALU_DEP_3) | instskip(NEXT) | instid1(VALU_DEP_2)
	v_fmac_f32_e32 v110, v88, v91
	v_fma_f32 v109, v87, v91, -v85
	ds_load_2addr_b64 v[85:88], v81 offset0:80 offset1:136
	s_waitcnt vmcnt(2) lgkmcnt(0)
	v_mul_f32_e32 v91, v86, v90
	v_mul_f32_e32 v220, v85, v90
	s_waitcnt vmcnt(1)
	v_mul_f32_e32 v222, v87, v104
	s_delay_alu instid0(VALU_DEP_3) | instskip(NEXT) | instid1(VALU_DEP_3)
	v_fma_f32 v219, v85, v89, -v91
	v_dual_mul_f32 v85, v88, v104 :: v_dual_fmac_f32 v220, v86, v89
	s_delay_alu instid0(VALU_DEP_3) | instskip(NEXT) | instid1(VALU_DEP_2)
	v_fmac_f32_e32 v222, v88, v103
	v_fma_f32 v221, v87, v103, -v85
	v_add_co_u32 v85, s0, 0x4000, v223
	s_delay_alu instid0(VALU_DEP_1)
	v_add_co_ci_u32_e64 v86, s0, 0, v224, s0
	s_clause 0x3
	global_load_b64 v[89:90], v[85:86], off offset:416
	global_load_b64 v[91:92], v[85:86], off offset:864
	;; [unrolled: 1-line block ×4, first 2 shown]
	ds_load_2addr_b64 v[85:88], v80 offset0:156 offset1:212
	s_waitcnt vmcnt(3) lgkmcnt(0)
	v_mul_f32_e32 v225, v86, v90
	v_mul_f32_e32 v226, v85, v90
	s_waitcnt vmcnt(2)
	v_mul_f32_e32 v228, v87, v92
	s_delay_alu instid0(VALU_DEP_3) | instskip(NEXT) | instid1(VALU_DEP_3)
	v_fma_f32 v225, v85, v89, -v225
	v_dual_mul_f32 v85, v88, v92 :: v_dual_fmac_f32 v226, v86, v89
	s_delay_alu instid0(VALU_DEP_3) | instskip(NEXT) | instid1(VALU_DEP_2)
	v_fmac_f32_e32 v228, v88, v91
	v_fma_f32 v227, v87, v91, -v85
	ds_load_2addr_b64 v[85:88], v81 offset0:192 offset1:248
	s_waitcnt lgkmcnt(0)
	v_mul_f32_e32 v89, v86, v116
	v_mul_f32_e32 v230, v85, v116
	s_delay_alu instid0(VALU_DEP_2) | instskip(NEXT) | instid1(VALU_DEP_2)
	v_fma_f32 v229, v85, v115, -v89
	v_dual_mul_f32 v85, v88, v98 :: v_dual_fmac_f32 v230, v86, v115
	v_mul_f32_e32 v86, v87, v98
	s_delay_alu instid0(VALU_DEP_2) | instskip(NEXT) | instid1(VALU_DEP_2)
	v_fma_f32 v85, v87, v97, -v85
	v_dual_fmac_f32 v86, v88, v97 :: v_dual_add_nc_u32 v87, 0x2000, v171
	ds_load_2addr_b64 v[88:91], v87 offset0:12 offset1:68
	s_waitcnt vmcnt(1) lgkmcnt(0)
	v_mul_f32_e32 v92, v89, v104
	v_mul_f32_e32 v98, v88, v104
	s_delay_alu instid0(VALU_DEP_2) | instskip(SKIP_2) | instid1(VALU_DEP_3)
	v_fma_f32 v97, v88, v103, -v92
	s_waitcnt vmcnt(0)
	v_mul_f32_e32 v88, v91, v224
	v_dual_fmac_f32 v98, v89, v103 :: v_dual_mul_f32 v89, v90, v224
	s_delay_alu instid0(VALU_DEP_2)
	v_fma_f32 v88, v90, v223, -v88
	v_add_nc_u32_e32 v90, 0x1400, v171
	ds_store_2addr_b64 v90, v[113:114], v[217:218] offset0:116 offset1:172
	ds_store_2addr_b64 v83, v[227:228], v[97:98] offset0:84 offset1:140
	v_add_nc_u32_e32 v83, 0xc00, v171
	v_fmac_f32_e32 v89, v91, v223
	ds_store_2addr_b64 v83, v[85:86], v[99:100] offset0:120 offset1:204
	ds_store_2addr_b64 v171, v[105:106], v[95:96] offset0:56 offset1:112
	;; [unrolled: 1-line block ×7, first 2 shown]
	ds_store_b64 v171, v[88:89] offset:8736
	s_and_saveexec_b32 s1, vcc_lo
	s_cbranch_execz .LBB0_17
; %bb.16:
	v_add_co_u32 v85, s0, 0x1000, v78
	s_delay_alu instid0(VALU_DEP_1) | instskip(SKIP_1) | instid1(VALU_DEP_1)
	v_add_co_ci_u32_e64 v86, s0, 0, v79, s0
	v_add_co_u32 v78, s0, 0x2000, v78
	v_add_co_ci_u32_e64 v79, s0, 0, v79, s0
	s_clause 0x1
	global_load_b64 v[85:86], v[85:86], off offset:384
	global_load_b64 v[78:79], v[78:79], off offset:992
	ds_load_b64 v[88:89], v171 offset:4480
	ds_load_b64 v[90:91], v171 offset:9184
	s_waitcnt vmcnt(0) lgkmcnt(0)
	v_dual_mul_f32 v83, v89, v86 :: v_dual_mul_f32 v94, v91, v79
	v_dual_mul_f32 v93, v88, v86 :: v_dual_mul_f32 v86, v90, v79
	s_delay_alu instid0(VALU_DEP_2) | instskip(NEXT) | instid1(VALU_DEP_2)
	v_fma_f32 v92, v88, v85, -v83
	v_dual_fmac_f32 v93, v89, v85 :: v_dual_fmac_f32 v86, v91, v78
	s_delay_alu instid0(VALU_DEP_4)
	v_fma_f32 v85, v90, v78, -v94
	ds_store_b64 v171, v[92:93] offset:4480
	ds_store_b64 v171, v[85:86] offset:9184
.LBB0_17:
	s_or_b32 exec_lo, exec_lo, s1
	s_waitcnt lgkmcnt(0)
	s_barrier
	buffer_gl0_inv
	ds_load_2addr_b64 v[103:106], v171 offset1:56
	ds_load_2addr_b64 v[115:118], v82 offset0:76 offset1:132
	ds_load_2addr_b64 v[95:98], v171 offset0:112 offset1:168
	;; [unrolled: 1-line block ×9, first 2 shown]
	v_lshlrev_b32_e32 v217, 3, v198
	v_lshlrev_b32_e32 v198, 3, v202
	s_and_saveexec_b32 s0, vcc_lo
	s_cbranch_execz .LBB0_19
; %bb.18:
	ds_load_b64 v[169:170], v171 offset:4480
	ds_load_b64 v[76:77], v171 offset:9184
.LBB0_19:
	s_or_b32 exec_lo, exec_lo, s0
	s_waitcnt lgkmcnt(8)
	v_dual_sub_f32 v117, v105, v117 :: v_dual_sub_f32 v118, v106, v118
	s_waitcnt lgkmcnt(2)
	v_dual_sub_f32 v228, v85, v101 :: v_dual_sub_f32 v229, v86, v102
	s_waitcnt lgkmcnt(0)
	v_dual_sub_f32 v87, v79, v87 :: v_dual_sub_f32 v88, v80, v88
	v_dual_sub_f32 v220, v103, v115 :: v_dual_sub_f32 v221, v104, v116
	v_dual_sub_f32 v224, v95, v111 :: v_dual_sub_f32 v225, v96, v112
	v_fma_f32 v115, v105, 2.0, -v117
	v_sub_f32_e32 v105, v97, v113
	v_fma_f32 v116, v106, 2.0, -v118
	v_dual_sub_f32 v106, v98, v114 :: v_dual_sub_f32 v99, v83, v99
	v_sub_f32_e32 v100, v84, v100
	v_fma_f32 v226, v85, 2.0, -v228
	v_fma_f32 v85, v79, 2.0, -v87
	v_dual_sub_f32 v78, v169, v76 :: v_dual_sub_f32 v79, v170, v77
	v_dual_sub_f32 v111, v91, v107 :: v_dual_sub_f32 v112, v92, v108
	v_fma_f32 v218, v103, 2.0, -v220
	v_fma_f32 v219, v104, 2.0, -v221
	;; [unrolled: 1-line block ×5, first 2 shown]
	v_dual_sub_f32 v95, v93, v109 :: v_dual_sub_f32 v96, v94, v110
	v_fma_f32 v104, v98, 2.0, -v106
	v_fma_f32 v97, v83, 2.0, -v99
	v_fma_f32 v98, v84, 2.0, -v100
	v_dual_sub_f32 v83, v81, v89 :: v_dual_sub_f32 v84, v82, v90
	v_fma_f32 v76, v169, 2.0, -v78
	v_fma_f32 v77, v170, 2.0, -v79
	;; [unrolled: 1-line block ×10, first 2 shown]
	s_barrier
	buffer_gl0_inv
	ds_store_b128 v119, v[218:221]
	ds_store_b128 v177, v[115:118]
	;; [unrolled: 1-line block ×10, first 2 shown]
	s_and_saveexec_b32 s0, vcc_lo
	s_cbranch_execz .LBB0_21
; %bb.20:
	ds_store_b128 v183, v[76:79]
.LBB0_21:
	s_or_b32 exec_lo, exec_lo, s0
	v_add_nc_u32_e32 v80, 0x1000, v171
	v_add_nc_u32_e32 v82, 0x1800, v171
	;; [unrolled: 1-line block ×5, first 2 shown]
	s_waitcnt lgkmcnt(0)
	s_barrier
	buffer_gl0_inv
	ds_load_2addr_b64 v[84:87], v171 offset1:56
	ds_load_2addr_b64 v[108:111], v80 offset0:76 offset1:132
	ds_load_2addr_b64 v[88:91], v171 offset0:112 offset1:168
	;; [unrolled: 1-line block ×9, first 2 shown]
	s_and_saveexec_b32 s0, vcc_lo
	s_cbranch_execz .LBB0_23
; %bb.22:
	ds_load_b64 v[76:77], v171 offset:4480
	ds_load_b64 v[78:79], v171 offset:9184
.LBB0_23:
	s_or_b32 exec_lo, exec_lo, s0
	s_waitcnt lgkmcnt(8)
	v_mul_f32_e32 v169, v168, v109
	v_mul_f32_e32 v177, v168, v111
	v_mul_f32_e32 v170, v168, v108
	v_mul_f32_e32 v178, v168, v110
	s_waitcnt lgkmcnt(0)
	v_mul_f32_e32 v179, v168, v103
	v_fmac_f32_e32 v169, v167, v108
	v_fmac_f32_e32 v177, v167, v110
	v_fma_f32 v108, v167, v109, -v170
	v_mul_f32_e32 v109, v168, v117
	v_mul_f32_e32 v170, v168, v119
	v_fma_f32 v110, v167, v111, -v178
	v_mul_f32_e32 v178, v168, v118
	v_mul_f32_e32 v182, v168, v79
	;; [unrolled: 1-line block ×3, first 2 shown]
	v_fmac_f32_e32 v109, v167, v116
	v_fmac_f32_e32 v170, v167, v118
	v_dual_mul_f32 v118, v168, v112 :: v_dual_fmac_f32 v179, v167, v102
	v_mul_f32_e32 v116, v168, v113
	v_fmac_f32_e32 v182, v167, v78
	v_fma_f32 v111, v167, v117, -v111
	v_fma_f32 v117, v167, v119, -v178
	v_mul_f32_e32 v178, v168, v105
	v_fma_f32 v113, v167, v113, -v118
	v_mul_f32_e32 v118, v168, v104
	v_fmac_f32_e32 v116, v167, v112
	v_mul_f32_e32 v112, v168, v115
	v_dual_mul_f32 v119, v168, v114 :: v_dual_fmac_f32 v178, v167, v104
	s_delay_alu instid0(VALU_DEP_4) | instskip(SKIP_1) | instid1(VALU_DEP_4)
	v_fma_f32 v118, v167, v105, -v118
	v_mul_f32_e32 v104, v168, v106
	v_dual_mul_f32 v105, v168, v100 :: v_dual_fmac_f32 v112, v167, v114
	s_delay_alu instid0(VALU_DEP_4) | instskip(SKIP_2) | instid1(VALU_DEP_4)
	v_fma_f32 v114, v167, v115, -v119
	v_mul_f32_e32 v119, v168, v101
	v_mul_f32_e32 v115, v168, v107
	v_fma_f32 v181, v167, v101, -v105
	v_mul_f32_e32 v101, v168, v102
	v_sub_f32_e32 v105, v91, v117
	v_fma_f32 v180, v167, v107, -v104
	v_mul_f32_e32 v102, v168, v78
	v_dual_sub_f32 v104, v90, v170 :: v_dual_fmac_f32 v119, v167, v100
	v_sub_f32_e32 v100, v84, v169
	v_sub_f32_e32 v107, v93, v113
	;; [unrolled: 1-line block ×3, first 2 shown]
	v_fma_f32 v169, v167, v79, -v102
	v_fma_f32 v168, v167, v103, -v101
	v_dual_sub_f32 v101, v85, v108 :: v_dual_sub_f32 v102, v88, v109
	v_sub_f32_e32 v103, v89, v111
	v_sub_f32_e32 v111, v97, v118
	v_sub_f32_e32 v109, v95, v114
	v_fma_f32 v78, v84, 2.0, -v100
	v_dual_sub_f32 v84, v86, v177 :: v_dual_fmac_f32 v115, v167, v106
	v_dual_sub_f32 v114, v80, v119 :: v_dual_sub_f32 v119, v77, v169
	v_sub_f32_e32 v118, v76, v182
	v_fma_f32 v79, v85, 2.0, -v101
	v_dual_sub_f32 v85, v87, v110 :: v_dual_sub_f32 v106, v92, v116
	v_sub_f32_e32 v108, v94, v112
	v_dual_sub_f32 v110, v96, v178 :: v_dual_sub_f32 v167, v82, v179
	v_dual_sub_f32 v112, v98, v115 :: v_dual_sub_f32 v115, v81, v181
	v_sub_f32_e32 v168, v83, v168
	v_fma_f32 v116, v76, 2.0, -v118
	v_fma_f32 v117, v77, 2.0, -v119
	;; [unrolled: 1-line block ×20, first 2 shown]
	s_barrier
	buffer_gl0_inv
	ds_store_2addr_b64 v194, v[78:79], v[100:101] offset1:2
	ds_store_2addr_b64 v193, v[86:87], v[84:85] offset1:2
	;; [unrolled: 1-line block ×10, first 2 shown]
	s_and_saveexec_b32 s0, vcc_lo
	s_cbranch_execz .LBB0_25
; %bb.24:
	v_and_or_b32 v76, 0x4fc, v174, v175
	s_delay_alu instid0(VALU_DEP_1)
	v_lshlrev_b32_e32 v76, 3, v76
	ds_store_2addr_b64 v76, v[116:117], v[118:119] offset1:2
.LBB0_25:
	s_or_b32 exec_lo, exec_lo, s0
	v_add_nc_u32_e32 v76, 0x1000, v171
	v_add_nc_u32_e32 v78, 0x1800, v171
	;; [unrolled: 1-line block ×5, first 2 shown]
	s_waitcnt lgkmcnt(0)
	s_barrier
	buffer_gl0_inv
	ds_load_2addr_b64 v[92:95], v171 offset1:56
	ds_load_2addr_b64 v[108:111], v76 offset0:76 offset1:132
	ds_load_2addr_b64 v[88:91], v171 offset0:112 offset1:168
	;; [unrolled: 1-line block ×9, first 2 shown]
	s_and_saveexec_b32 s0, vcc_lo
	s_cbranch_execz .LBB0_27
; %bb.26:
	ds_load_b64 v[116:117], v171 offset:4480
	ds_load_b64 v[118:119], v171 offset:9184
.LBB0_27:
	s_or_b32 exec_lo, exec_lo, s0
	s_waitcnt lgkmcnt(8)
	v_mul_f32_e32 v167, v166, v109
	v_mul_f32_e32 v169, v166, v111
	;; [unrolled: 1-line block ×4, first 2 shown]
	s_waitcnt lgkmcnt(0)
	v_dual_mul_f32 v178, v166, v99 :: v_dual_fmac_f32 v167, v165, v108
	v_fmac_f32_e32 v169, v165, v110
	v_fma_f32 v108, v165, v109, -v168
	v_fma_f32 v109, v165, v111, -v170
	s_delay_alu instid0(VALU_DEP_4) | instskip(SKIP_3) | instid1(VALU_DEP_4)
	v_dual_mul_f32 v111, v166, v115 :: v_dual_fmac_f32 v178, v165, v98
	v_mul_f32_e32 v110, v166, v112
	v_mul_f32_e32 v170, v166, v103
	;; [unrolled: 1-line block ×3, first 2 shown]
	v_dual_fmac_f32 v111, v165, v114 :: v_dual_mul_f32 v168, v166, v105
	s_delay_alu instid0(VALU_DEP_4) | instskip(NEXT) | instid1(VALU_DEP_4)
	v_fma_f32 v110, v165, v113, -v110
	v_dual_mul_f32 v113, v166, v104 :: v_dual_fmac_f32 v170, v165, v102
	s_delay_alu instid0(VALU_DEP_4) | instskip(NEXT) | instid1(VALU_DEP_2)
	v_dual_fmac_f32 v175, v165, v112 :: v_dual_mul_f32 v112, v166, v114
	v_fma_f32 v105, v165, v105, -v113
	v_mul_f32_e32 v113, v166, v101
	s_barrier
	s_delay_alu instid0(VALU_DEP_3)
	v_fma_f32 v112, v165, v115, -v112
	buffer_gl0_inv
	v_sub_f32_e32 v105, v81, v105
	v_fmac_f32_e32 v113, v165, v100
	v_mul_f32_e32 v115, v166, v100
	v_mul_f32_e32 v100, v166, v102
	v_fmac_f32_e32 v168, v165, v104
	v_mul_f32_e32 v104, v166, v106
	v_mul_f32_e32 v177, v166, v97
	;; [unrolled: 1-line block ×3, first 2 shown]
	v_fma_f32 v115, v165, v101, -v115
	v_mul_f32_e32 v101, v166, v96
	v_fma_f32 v179, v165, v103, -v100
	v_dual_mul_f32 v100, v166, v98 :: v_dual_sub_f32 v103, v91, v112
	v_fma_f32 v81, v81, 2.0, -v105
	s_delay_alu instid0(VALU_DEP_4)
	v_fma_f32 v180, v165, v97, -v101
	v_sub_f32_e32 v97, v93, v108
	v_fma_f32 v107, v165, v107, -v104
	v_sub_f32_e32 v104, v80, v168
	v_fmac_f32_e32 v177, v165, v96
	v_fmac_f32_e32 v114, v165, v106
	v_sub_f32_e32 v96, v92, v167
	v_fma_f32 v167, v165, v99, -v100
	v_dual_sub_f32 v98, v94, v169 :: v_dual_sub_f32 v107, v83, v107
	v_dual_sub_f32 v99, v95, v109 :: v_dual_sub_f32 v100, v88, v175
	v_dual_sub_f32 v101, v89, v110 :: v_dual_sub_f32 v102, v90, v111
	v_fma_f32 v92, v92, 2.0, -v96
	v_fma_f32 v93, v93, 2.0, -v97
	v_dual_sub_f32 v106, v82, v114 :: v_dual_sub_f32 v109, v85, v115
	v_sub_f32_e32 v108, v84, v113
	v_dual_sub_f32 v110, v86, v170 :: v_dual_sub_f32 v111, v87, v179
	v_dual_sub_f32 v112, v76, v177 :: v_dual_sub_f32 v113, v77, v180
	;; [unrolled: 1-line block ×3, first 2 shown]
	v_fma_f32 v94, v94, 2.0, -v98
	v_fma_f32 v95, v95, 2.0, -v99
	;; [unrolled: 1-line block ×17, first 2 shown]
	ds_store_2addr_b64 v206, v[92:93], v[96:97] offset1:4
	ds_store_2addr_b64 v205, v[94:95], v[98:99] offset1:4
	;; [unrolled: 1-line block ×10, first 2 shown]
	s_and_saveexec_b32 s0, vcc_lo
	s_cbranch_execz .LBB0_29
; %bb.28:
	v_mul_f32_e32 v76, v166, v118
	v_and_or_b32 v80, 0x4f8, v174, v176
	s_delay_alu instid0(VALU_DEP_2) | instskip(SKIP_1) | instid1(VALU_DEP_3)
	v_fma_f32 v76, v165, v119, -v76
	v_mul_f32_e32 v78, v166, v119
	v_lshlrev_b32_e32 v80, 3, v80
	s_delay_alu instid0(VALU_DEP_3) | instskip(NEXT) | instid1(VALU_DEP_3)
	v_sub_f32_e32 v77, v117, v76
	v_fmac_f32_e32 v78, v165, v118
	s_delay_alu instid0(VALU_DEP_2) | instskip(NEXT) | instid1(VALU_DEP_2)
	v_fma_f32 v79, v117, 2.0, -v77
	v_sub_f32_e32 v76, v116, v78
	s_delay_alu instid0(VALU_DEP_1)
	v_fma_f32 v78, v116, 2.0, -v76
	ds_store_2addr_b64 v80, v[78:79], v[76:77] offset1:4
.LBB0_29:
	s_or_b32 exec_lo, exec_lo, s0
	v_add_nc_u32_e32 v76, 0x800, v171
	v_add_nc_u32_e32 v77, 0x1800, v171
	s_waitcnt lgkmcnt(0)
	s_barrier
	buffer_gl0_inv
	ds_load_2addr_b64 v[81:84], v76 offset0:80 offset1:136
	ds_load_2addr_b64 v[85:88], v77 offset0:16 offset1:72
	;; [unrolled: 1-line block ×3, first 2 shown]
	ds_load_2addr_b64 v[93:96], v171 offset1:56
	ds_load_2addr_b64 v[97:100], v171 offset0:112 offset1:168
	v_add_nc_u32_e32 v79, 0x1000, v171
	v_add_nc_u32_e32 v78, 0x400, v171
	;; [unrolled: 1-line block ×3, first 2 shown]
	s_mov_b32 s2, 0x899406f7
	s_mov_b32 s3, 0x3f4bdd2b
	s_mul_hi_u32 s1, s4, 0x24c
	s_waitcnt lgkmcnt(4)
	v_mul_f32_e32 v119, v1, v84
	s_waitcnt lgkmcnt(3)
	v_mul_f32_e32 v177, v3, v88
	v_mul_f32_e32 v170, v3, v86
	s_waitcnt lgkmcnt(2)
	v_dual_mul_f32 v174, v3, v85 :: v_dual_mul_f32 v175, v1, v90
	ds_load_b64 v[117:118], v171 offset:8960
	ds_load_2addr_b64 v[101:104], v77 offset0:128 offset1:184
	ds_load_2addr_b64 v[105:108], v79 offset0:48 offset1:104
	;; [unrolled: 1-line block ×5, first 2 shown]
	v_dual_mul_f32 v169, v1, v83 :: v_dual_fmac_f32 v170, v2, v85
	v_dual_mul_f32 v176, v1, v89 :: v_dual_fmac_f32 v119, v0, v83
	v_mul_f32_e32 v85, v3, v87
	s_delay_alu instid0(VALU_DEP_3)
	v_fma_f32 v83, v0, v84, -v169
	v_fma_f32 v84, v2, v86, -v174
	v_fmac_f32_e32 v175, v0, v89
	v_fma_f32 v86, v0, v90, -v176
	s_waitcnt lgkmcnt(0)
	s_barrier
	buffer_gl0_inv
	v_mul_f32_e32 v174, v3, v102
	v_dual_mul_f32 v176, v1, v106 :: v_dual_fmac_f32 v177, v2, v87
	v_dual_mul_f32 v87, v1, v91 :: v_dual_mul_f32 v178, v3, v114
	v_fma_f32 v88, v2, v88, -v85
	v_mul_f32_e32 v85, v3, v101
	v_dual_mul_f32 v169, v1, v92 :: v_dual_fmac_f32 v174, v2, v101
	s_delay_alu instid0(VALU_DEP_4) | instskip(SKIP_1) | instid1(VALU_DEP_4)
	v_fma_f32 v90, v0, v92, -v87
	v_mul_f32_e32 v87, v1, v105
	v_fma_f32 v92, v2, v102, -v85
	v_dual_mul_f32 v101, v3, v104 :: v_dual_fmac_f32 v178, v2, v113
	v_mul_f32_e32 v85, v3, v103
	s_delay_alu instid0(VALU_DEP_4) | instskip(SKIP_1) | instid1(VALU_DEP_4)
	v_fma_f32 v102, v0, v106, -v87
	v_mul_f32_e32 v87, v1, v107
	v_fmac_f32_e32 v101, v2, v103
	v_dual_fmac_f32 v169, v0, v91 :: v_dual_mul_f32 v106, v1, v108
	v_fma_f32 v103, v2, v104, -v85
	v_mul_f32_e32 v85, v3, v113
	v_fma_f32 v104, v0, v108, -v87
	v_mul_f32_e32 v179, v1, v166
	v_sub_f32_e32 v89, v119, v170
	v_mul_f32_e32 v113, v3, v116
	v_fma_f32 v108, v2, v114, -v85
	v_mul_f32_e32 v85, v3, v115
	v_mul_f32_e32 v87, v1, v165
	v_fmac_f32_e32 v179, v0, v165
	v_mul_f32_e32 v165, v1, v168
	v_fmac_f32_e32 v113, v2, v115
	v_mul_f32_e32 v1, v1, v167
	v_fma_f32 v115, v2, v116, -v85
	v_mul_f32_e32 v116, v3, v118
	v_mul_f32_e32 v3, v3, v117
	v_fma_f32 v114, v0, v166, -v87
	v_fma_f32 v166, v0, v168, -v1
	s_delay_alu instid0(VALU_DEP_4) | instskip(NEXT) | instid1(VALU_DEP_4)
	v_dual_add_f32 v1, v93, v119 :: v_dual_fmac_f32 v116, v2, v117
	v_fma_f32 v118, v2, v118, -v3
	v_add_f32_e32 v3, v83, v84
	s_delay_alu instid0(VALU_DEP_3) | instskip(SKIP_1) | instid1(VALU_DEP_3)
	v_dual_add_f32 v87, v94, v83 :: v_dual_add_f32 v2, v1, v170
	v_dual_sub_f32 v85, v83, v84 :: v_dual_fmac_f32 v176, v0, v105
	v_fma_f32 v1, -0.5, v3, v94
	s_delay_alu instid0(VALU_DEP_3) | instskip(SKIP_1) | instid1(VALU_DEP_3)
	v_add_f32_e32 v3, v87, v84
	v_dual_sub_f32 v91, v86, v88 :: v_dual_fmac_f32 v106, v0, v107
	v_dual_add_f32 v105, v98, v90 :: v_dual_fmamk_f32 v84, v89, 0x3f5db3d7, v1
	v_fmac_f32_e32 v1, 0xbf5db3d7, v89
	v_dual_add_f32 v89, v86, v88 :: v_dual_add_f32 v86, v96, v86
	v_dual_add_f32 v87, v95, v175 :: v_dual_add_f32 v94, v90, v92
	s_delay_alu instid0(VALU_DEP_2) | instskip(NEXT) | instid1(VALU_DEP_3)
	v_dual_sub_f32 v107, v102, v103 :: v_dual_fmac_f32 v96, -0.5, v89
	v_dual_sub_f32 v89, v175, v177 :: v_dual_add_f32 v86, v86, v88
	s_delay_alu instid0(VALU_DEP_1) | instskip(SKIP_3) | instid1(VALU_DEP_2)
	v_dual_add_f32 v117, v104, v108 :: v_dual_fmamk_f32 v88, v89, 0x3f5db3d7, v96
	v_dual_fmac_f32 v96, 0xbf5db3d7, v89 :: v_dual_fmac_f32 v165, v0, v167
	v_dual_add_f32 v0, v119, v170 :: v_dual_add_f32 v119, v110, v104
	v_sub_f32_e32 v167, v166, v118
	v_fma_f32 v0, -0.5, v0, v93
	v_add_f32_e32 v93, v97, v169
	s_delay_alu instid0(VALU_DEP_2) | instskip(SKIP_2) | instid1(VALU_DEP_1)
	v_fmamk_f32 v83, v85, 0xbf5db3d7, v0
	v_fmac_f32_e32 v0, 0x3f5db3d7, v85
	v_add_f32_e32 v85, v175, v177
	v_fma_f32 v95, -0.5, v85, v95
	v_add_f32_e32 v85, v87, v177
	s_delay_alu instid0(VALU_DEP_2) | instskip(SKIP_2) | instid1(VALU_DEP_1)
	v_fmamk_f32 v87, v91, 0xbf5db3d7, v95
	v_fmac_f32_e32 v95, 0x3f5db3d7, v91
	v_add_f32_e32 v91, v169, v174
	v_fma_f32 v89, -0.5, v91, v97
	v_sub_f32_e32 v97, v90, v92
	v_fma_f32 v90, -0.5, v94, v98
	v_sub_f32_e32 v98, v169, v174
	v_add_f32_e32 v91, v93, v174
	v_add_f32_e32 v92, v105, v92
	v_fmamk_f32 v93, v97, 0xbf5db3d7, v89
	v_fmac_f32_e32 v89, 0x3f5db3d7, v97
	v_dual_add_f32 v97, v176, v101 :: v_dual_fmamk_f32 v94, v98, 0x3f5db3d7, v90
	v_fmac_f32_e32 v90, 0xbf5db3d7, v98
	v_add_f32_e32 v98, v102, v103
	v_dual_add_f32 v102, v100, v102 :: v_dual_add_f32 v105, v99, v176
	s_delay_alu instid0(VALU_DEP_4) | instskip(NEXT) | instid1(VALU_DEP_3)
	v_fma_f32 v99, -0.5, v97, v99
	v_fmac_f32_e32 v100, -0.5, v98
	s_delay_alu instid0(VALU_DEP_3)
	v_add_f32_e32 v98, v102, v103
	v_add_f32_e32 v103, v106, v178
	;; [unrolled: 1-line block ×3, first 2 shown]
	v_sub_f32_e32 v105, v176, v101
	v_fmamk_f32 v101, v107, 0xbf5db3d7, v99
	v_fmac_f32_e32 v99, 0x3f5db3d7, v107
	v_add_f32_e32 v107, v109, v106
	v_fma_f32 v103, -0.5, v103, v109
	v_sub_f32_e32 v109, v104, v108
	v_fma_f32 v104, -0.5, v117, v110
	v_sub_f32_e32 v110, v106, v178
	v_fmamk_f32 v102, v105, 0x3f5db3d7, v100
	v_dual_fmac_f32 v100, 0xbf5db3d7, v105 :: v_dual_add_f32 v105, v107, v178
	v_fmamk_f32 v107, v109, 0xbf5db3d7, v103
	v_dual_fmac_f32 v103, 0x3f5db3d7, v109 :: v_dual_add_f32 v106, v119, v108
	v_dual_add_f32 v109, v179, v113 :: v_dual_fmamk_f32 v108, v110, 0x3f5db3d7, v104
	v_dual_add_f32 v117, v111, v179 :: v_dual_fmac_f32 v104, 0xbf5db3d7, v110
	v_add_f32_e32 v110, v114, v115
	s_delay_alu instid0(VALU_DEP_3) | instskip(SKIP_1) | instid1(VALU_DEP_4)
	v_fma_f32 v111, -0.5, v109, v111
	v_sub_f32_e32 v119, v114, v115
	v_dual_add_f32 v109, v117, v113 :: v_dual_add_f32 v114, v112, v114
	s_delay_alu instid0(VALU_DEP_4) | instskip(NEXT) | instid1(VALU_DEP_3)
	v_dual_fmac_f32 v112, -0.5, v110 :: v_dual_sub_f32 v117, v179, v113
	v_fmamk_f32 v113, v119, 0xbf5db3d7, v111
	v_fmac_f32_e32 v111, 0x3f5db3d7, v119
	s_delay_alu instid0(VALU_DEP_4) | instskip(NEXT) | instid1(VALU_DEP_4)
	v_dual_add_f32 v110, v114, v115 :: v_dual_add_f32 v115, v165, v116
	v_fmamk_f32 v114, v117, 0x3f5db3d7, v112
	v_dual_fmac_f32 v112, 0xbf5db3d7, v117 :: v_dual_add_f32 v117, v166, v118
	v_add_f32_e32 v119, v81, v165
	s_delay_alu instid0(VALU_DEP_4) | instskip(SKIP_1) | instid1(VALU_DEP_3)
	v_fma_f32 v81, -0.5, v115, v81
	v_dual_add_f32 v166, v82, v166 :: v_dual_sub_f32 v165, v165, v116
	v_dual_fmac_f32 v82, -0.5, v117 :: v_dual_add_f32 v115, v119, v116
	s_delay_alu instid0(VALU_DEP_3) | instskip(NEXT) | instid1(VALU_DEP_3)
	v_fmamk_f32 v117, v167, 0xbf5db3d7, v81
	v_dual_fmac_f32 v81, 0x3f5db3d7, v167 :: v_dual_add_f32 v116, v166, v118
	s_delay_alu instid0(VALU_DEP_3)
	v_fmamk_f32 v118, v165, 0x3f5db3d7, v82
	v_fmac_f32_e32 v82, 0xbf5db3d7, v165
	ds_store_2addr_b64 v207, v[2:3], v[83:84] offset1:8
	ds_store_b64 v207, v[0:1] offset:128
	ds_store_2addr_b64 v208, v[85:86], v[87:88] offset1:8
	ds_store_b64 v208, v[95:96] offset:128
	;; [unrolled: 2-line block ×7, first 2 shown]
	s_waitcnt lgkmcnt(0)
	s_barrier
	buffer_gl0_inv
	ds_load_2addr_b64 v[0:3], v171 offset0:112 offset1:168
	ds_load_2addr_b64 v[81:84], v76 offset0:80 offset1:136
	;; [unrolled: 1-line block ×4, first 2 shown]
	ds_load_2addr_b64 v[93:96], v171 offset1:56
	ds_load_2addr_b64 v[97:100], v77 offset0:16 offset1:72
	ds_load_2addr_b64 v[101:104], v80 offset0:112 offset1:168
	;; [unrolled: 1-line block ×5, first 2 shown]
	ds_load_b64 v[117:118], v171 offset:8960
	s_waitcnt lgkmcnt(0)
	s_barrier
	buffer_gl0_inv
	v_mul_f32_e32 v119, v5, v3
	v_mul_f32_e32 v165, v33, v88
	;; [unrolled: 1-line block ×3, first 2 shown]
	s_delay_alu instid0(VALU_DEP_3) | instskip(SKIP_4) | instid1(VALU_DEP_4)
	v_fmac_f32_e32 v119, v4, v2
	v_mul_f32_e32 v2, v5, v2
	v_mul_f32_e32 v5, v7, v82
	v_mul_f32_e32 v7, v7, v81
	v_fmac_f32_e32 v165, v32, v87
	v_fma_f32 v2, v4, v3, -v2
	s_delay_alu instid0(VALU_DEP_4) | instskip(NEXT) | instid1(VALU_DEP_4)
	v_fmac_f32_e32 v5, v6, v81
	v_fma_f32 v3, v6, v82, -v7
	v_fma_f32 v4, v32, v88, -v33
	v_mul_f32_e32 v6, v35, v90
	v_dual_mul_f32 v7, v35, v89 :: v_dual_mul_f32 v32, v25, v100
	v_mul_f32_e32 v25, v25, v99
	s_delay_alu instid0(VALU_DEP_3) | instskip(NEXT) | instid1(VALU_DEP_3)
	v_dual_mul_f32 v33, v27, v102 :: v_dual_fmac_f32 v6, v34, v89
	v_fma_f32 v7, v34, v90, -v7
	s_delay_alu instid0(VALU_DEP_4) | instskip(NEXT) | instid1(VALU_DEP_4)
	v_fmac_f32_e32 v32, v24, v99
	v_fma_f32 v24, v24, v100, -v25
	v_mul_f32_e32 v25, v27, v101
	v_mul_f32_e32 v27, v21, v106
	v_dual_mul_f32 v21, v21, v105 :: v_dual_mul_f32 v34, v23, v84
	v_mul_f32_e32 v23, v23, v83
	v_fmac_f32_e32 v33, v26, v101
	v_fma_f32 v25, v26, v102, -v25
	v_fmac_f32_e32 v27, v20, v105
	v_fma_f32 v20, v20, v106, -v21
	;; [unrolled: 2-line block ×3, first 2 shown]
	v_mul_f32_e32 v22, v13, v110
	v_mul_f32_e32 v13, v13, v109
	;; [unrolled: 1-line block ×3, first 2 shown]
	v_dual_mul_f32 v9, v9, v113 :: v_dual_mul_f32 v82, v11, v104
	s_delay_alu instid0(VALU_DEP_4) | instskip(NEXT) | instid1(VALU_DEP_4)
	v_fmac_f32_e32 v22, v12, v109
	v_fma_f32 v35, v12, v110, -v13
	s_delay_alu instid0(VALU_DEP_4)
	v_dual_fmac_f32 v26, v8, v113 :: v_dual_mul_f32 v11, v11, v103
	v_mul_f32_e32 v83, v17, v108
	v_mul_f32_e32 v12, v17, v107
	v_fma_f32 v17, v8, v114, -v9
	v_fmac_f32_e32 v82, v10, v103
	v_mul_f32_e32 v88, v19, v86
	v_dual_mul_f32 v8, v19, v85 :: v_dual_mul_f32 v9, v29, v111
	v_mul_f32_e32 v23, v15, v92
	v_mul_f32_e32 v15, v15, v91
	v_fma_f32 v84, v10, v104, -v11
	v_mul_f32_e32 v90, v31, v98
	v_fmac_f32_e32 v88, v18, v85
	v_fma_f32 v85, v18, v86, -v8
	v_fma_f32 v86, v28, v112, -v9
	v_dual_mul_f32 v8, v31, v97 :: v_dual_mul_f32 v31, v37, v116
	v_mul_f32_e32 v9, v37, v115
	v_fmac_f32_e32 v23, v14, v91
	v_fma_f32 v81, v14, v92, -v15
	v_fma_f32 v87, v16, v108, -v12
	v_mul_f32_e32 v89, v29, v112
	v_fmac_f32_e32 v31, v36, v115
	v_fma_f32 v36, v36, v116, -v9
	v_add_f32_e32 v9, v2, v25
	v_sub_f32_e32 v2, v2, v25
	v_add_f32_e32 v12, v3, v24
	v_dual_sub_f32 v3, v3, v24 :: v_dual_add_f32 v14, v4, v7
	v_dual_sub_f32 v4, v7, v4 :: v_dual_fmac_f32 v89, v28, v111
	v_fmac_f32_e32 v90, v30, v97
	v_fma_f32 v30, v30, v98, -v8
	s_delay_alu instid0(VALU_DEP_3)
	v_dual_add_f32 v11, v5, v32 :: v_dual_add_f32 v24, v4, v3
	v_sub_f32_e32 v28, v4, v3
	v_sub_f32_e32 v4, v2, v4
	v_dual_add_f32 v8, v119, v33 :: v_dual_add_f32 v13, v165, v6
	v_add_f32_e32 v15, v12, v9
	v_fmac_f32_e32 v83, v16, v107
	v_mul_f32_e32 v37, v39, v118
	s_delay_alu instid0(VALU_DEP_4)
	v_add_f32_e32 v7, v11, v8
	v_mul_f32_e32 v10, v39, v117
	v_sub_f32_e32 v16, v11, v8
	v_sub_f32_e32 v18, v12, v9
	v_dual_sub_f32 v8, v8, v13 :: v_dual_sub_f32 v9, v9, v14
	v_dual_sub_f32 v11, v13, v11 :: v_dual_sub_f32 v12, v14, v12
	v_add_f32_e32 v7, v13, v7
	v_dual_add_f32 v13, v14, v15 :: v_dual_sub_f32 v14, v3, v2
	v_fmac_f32_e32 v37, v38, v117
	v_fma_f32 v38, v38, v118, -v10
	v_sub_f32_e32 v5, v5, v32
	v_mul_f32_e32 v8, 0x3f4a47b2, v8
	v_sub_f32_e32 v6, v6, v165
	v_mul_f32_e32 v32, 0xbf5ff5aa, v14
	v_dual_sub_f32 v10, v119, v33 :: v_dual_add_f32 v15, v24, v2
	s_delay_alu instid0(VALU_DEP_3) | instskip(SKIP_1) | instid1(VALU_DEP_3)
	v_dual_add_f32 v2, v93, v7 :: v_dual_add_f32 v19, v6, v5
	v_sub_f32_e32 v25, v6, v5
	v_sub_f32_e32 v5, v5, v10
	;; [unrolled: 1-line block ×3, first 2 shown]
	s_delay_alu instid0(VALU_DEP_4)
	v_dual_add_f32 v3, v94, v13 :: v_dual_add_f32 v10, v19, v10
	v_mul_f32_e32 v9, 0x3f4a47b2, v9
	v_dual_mul_f32 v19, 0x3d64c772, v11 :: v_dual_mul_f32 v24, 0x3d64c772, v12
	v_dual_mul_f32 v25, 0x3f08b237, v25 :: v_dual_mul_f32 v28, 0x3f08b237, v28
	v_mul_f32_e32 v29, 0xbf5ff5aa, v5
	v_fmamk_f32 v7, v7, 0xbf955555, v2
	v_fmamk_f32 v13, v13, 0xbf955555, v3
	v_dual_fmamk_f32 v11, v11, 0x3d64c772, v8 :: v_dual_fmamk_f32 v12, v12, 0x3d64c772, v9
	v_fma_f32 v19, 0x3f3bfb3b, v16, -v19
	v_fma_f32 v24, 0x3f3bfb3b, v18, -v24
	;; [unrolled: 1-line block ×4, first 2 shown]
	v_fmamk_f32 v16, v6, 0xbeae86e6, v25
	v_fmamk_f32 v18, v4, 0xbeae86e6, v28
	v_fma_f32 v25, 0xbf5ff5aa, v5, -v25
	v_fma_f32 v14, 0xbf5ff5aa, v14, -v28
	;; [unrolled: 1-line block ×4, first 2 shown]
	v_dual_add_f32 v32, v11, v7 :: v_dual_add_f32 v33, v12, v13
	v_dual_add_f32 v11, v19, v7 :: v_dual_add_f32 v12, v24, v13
	v_dual_add_f32 v19, v8, v7 :: v_dual_fmac_f32 v16, 0xbee1c552, v10
	v_dual_fmac_f32 v18, 0xbee1c552, v15 :: v_dual_fmac_f32 v25, 0xbee1c552, v10
	v_fmac_f32_e32 v29, 0xbee1c552, v15
	v_dual_fmac_f32 v14, 0xbee1c552, v15 :: v_dual_add_f32 v13, v9, v13
	v_fmac_f32_e32 v28, 0xbee1c552, v10
	s_delay_alu instid0(VALU_DEP_4) | instskip(NEXT) | instid1(VALU_DEP_3)
	v_dual_add_f32 v4, v18, v32 :: v_dual_add_f32 v15, v16, v33
	v_sub_f32_e32 v8, v11, v14
	v_dual_add_f32 v10, v14, v11 :: v_dual_sub_f32 v11, v12, v25
	v_sub_f32_e32 v14, v32, v18
	v_add_f32_e32 v18, v20, v84
	v_sub_f32_e32 v20, v20, v84
	v_dual_add_f32 v24, v34, v26 :: v_dual_add_f32 v9, v25, v12
	v_dual_sub_f32 v12, v19, v29 :: v_dual_sub_f32 v5, v33, v16
	v_dual_add_f32 v16, v27, v82 :: v_dual_add_f32 v25, v21, v17
	v_add_f32_e32 v6, v29, v19
	v_sub_f32_e32 v7, v13, v28
	v_add_f32_e32 v13, v28, v13
	v_sub_f32_e32 v19, v27, v82
	v_dual_sub_f32 v26, v34, v26 :: v_dual_sub_f32 v17, v21, v17
	v_add_f32_e32 v21, v22, v23
	v_add_f32_e32 v27, v35, v81
	v_dual_sub_f32 v22, v23, v22 :: v_dual_sub_f32 v23, v81, v35
	v_dual_add_f32 v28, v24, v16 :: v_dual_add_f32 v29, v25, v18
	v_dual_sub_f32 v32, v24, v16 :: v_dual_sub_f32 v33, v25, v18
	v_sub_f32_e32 v34, v16, v21
	v_sub_f32_e32 v18, v18, v27
	v_dual_sub_f32 v24, v21, v24 :: v_dual_sub_f32 v25, v27, v25
	v_dual_add_f32 v16, v22, v26 :: v_dual_add_f32 v35, v23, v17
	v_sub_f32_e32 v39, v22, v26
	v_sub_f32_e32 v81, v23, v17
	v_add_f32_e32 v21, v21, v28
	v_dual_add_f32 v27, v27, v29 :: v_dual_sub_f32 v28, v17, v20
	v_dual_sub_f32 v22, v19, v22 :: v_dual_sub_f32 v23, v20, v23
	v_sub_f32_e32 v26, v26, v19
	v_dual_add_f32 v19, v16, v19 :: v_dual_add_f32 v20, v35, v20
	s_delay_alu instid0(VALU_DEP_4)
	v_dual_add_f32 v16, v95, v21 :: v_dual_add_f32 v17, v96, v27
	v_mul_f32_e32 v29, 0x3f4a47b2, v34
	v_mul_f32_e32 v18, 0x3f4a47b2, v18
	v_dual_mul_f32 v34, 0x3d64c772, v24 :: v_dual_mul_f32 v35, 0x3d64c772, v25
	v_mul_f32_e32 v39, 0x3f08b237, v39
	v_mul_f32_e32 v81, 0x3f08b237, v81
	;; [unrolled: 1-line block ×4, first 2 shown]
	v_fmamk_f32 v21, v21, 0xbf955555, v16
	v_fmamk_f32 v27, v27, 0xbf955555, v17
	v_dual_fmamk_f32 v24, v24, 0x3d64c772, v29 :: v_dual_fmamk_f32 v25, v25, 0x3d64c772, v18
	v_fma_f32 v34, 0x3f3bfb3b, v32, -v34
	v_fma_f32 v35, 0x3f3bfb3b, v33, -v35
	;; [unrolled: 1-line block ×4, first 2 shown]
	v_fmamk_f32 v32, v22, 0xbeae86e6, v39
	v_fmamk_f32 v33, v23, 0xbeae86e6, v81
	v_fma_f32 v26, 0xbf5ff5aa, v26, -v39
	v_fma_f32 v28, 0xbf5ff5aa, v28, -v81
	v_fma_f32 v81, 0x3eae86e6, v23, -v84
	v_fma_f32 v39, 0x3eae86e6, v22, -v82
	v_add_f32_e32 v82, v24, v21
	v_add_f32_e32 v84, v25, v27
	v_dual_add_f32 v24, v34, v21 :: v_dual_add_f32 v25, v35, v27
	v_dual_add_f32 v29, v29, v21 :: v_dual_fmac_f32 v32, 0xbee1c552, v19
	v_dual_fmac_f32 v33, 0xbee1c552, v20 :: v_dual_fmac_f32 v26, 0xbee1c552, v19
	v_fmac_f32_e32 v81, 0xbee1c552, v20
	v_dual_fmac_f32 v28, 0xbee1c552, v20 :: v_dual_add_f32 v27, v18, v27
	s_delay_alu instid0(VALU_DEP_3) | instskip(NEXT) | instid1(VALU_DEP_3)
	v_dual_fmac_f32 v39, 0xbee1c552, v19 :: v_dual_add_f32 v18, v33, v82
	v_dual_sub_f32 v19, v84, v32 :: v_dual_add_f32 v20, v81, v29
	s_delay_alu instid0(VALU_DEP_3)
	v_dual_sub_f32 v22, v24, v28 :: v_dual_add_f32 v23, v26, v25
	v_dual_add_f32 v24, v28, v24 :: v_dual_sub_f32 v25, v25, v26
	v_sub_f32_e32 v26, v29, v81
	v_dual_sub_f32 v28, v82, v33 :: v_dual_add_f32 v29, v32, v84
	v_add_f32_e32 v32, v83, v37
	v_add_f32_e32 v33, v87, v38
	v_sub_f32_e32 v34, v83, v37
	v_sub_f32_e32 v35, v87, v38
	v_dual_add_f32 v37, v88, v31 :: v_dual_add_f32 v38, v85, v36
	v_sub_f32_e32 v21, v27, v39
	v_add_f32_e32 v27, v39, v27
	v_dual_sub_f32 v31, v88, v31 :: v_dual_sub_f32 v36, v85, v36
	v_add_f32_e32 v39, v89, v90
	v_add_f32_e32 v81, v86, v30
	v_sub_f32_e32 v82, v90, v89
	v_dual_sub_f32 v30, v30, v86 :: v_dual_add_f32 v83, v37, v32
	v_dual_add_f32 v84, v38, v33 :: v_dual_sub_f32 v85, v37, v32
	v_sub_f32_e32 v86, v38, v33
	v_dual_sub_f32 v32, v32, v39 :: v_dual_sub_f32 v33, v33, v81
	v_dual_sub_f32 v37, v39, v37 :: v_dual_sub_f32 v38, v81, v38
	v_add_f32_e32 v87, v82, v31
	v_add_f32_e32 v88, v30, v36
	v_sub_f32_e32 v89, v82, v31
	v_dual_sub_f32 v90, v30, v36 :: v_dual_sub_f32 v31, v31, v34
	v_add_f32_e32 v39, v39, v83
	v_dual_add_f32 v81, v81, v84 :: v_dual_sub_f32 v36, v36, v35
	v_sub_f32_e32 v82, v34, v82
	v_sub_f32_e32 v30, v35, v30
	v_dual_add_f32 v34, v87, v34 :: v_dual_add_f32 v35, v88, v35
	s_delay_alu instid0(VALU_DEP_4)
	v_dual_add_f32 v0, v0, v39 :: v_dual_add_f32 v1, v1, v81
	v_dual_mul_f32 v32, 0x3f4a47b2, v32 :: v_dual_mul_f32 v33, 0x3f4a47b2, v33
	v_dual_mul_f32 v83, 0x3d64c772, v37 :: v_dual_mul_f32 v84, 0x3d64c772, v38
	;; [unrolled: 1-line block ×4, first 2 shown]
	v_fmamk_f32 v39, v39, 0xbf955555, v0
	v_fmamk_f32 v81, v81, 0xbf955555, v1
	v_dual_fmamk_f32 v37, v37, 0x3d64c772, v32 :: v_dual_fmamk_f32 v38, v38, 0x3d64c772, v33
	v_fma_f32 v83, 0x3f3bfb3b, v85, -v83
	v_fma_f32 v84, 0x3f3bfb3b, v86, -v84
	;; [unrolled: 1-line block ×4, first 2 shown]
	v_fmamk_f32 v85, v82, 0xbeae86e6, v87
	v_fmamk_f32 v86, v30, 0xbeae86e6, v88
	v_fma_f32 v87, 0xbf5ff5aa, v31, -v87
	v_fma_f32 v36, 0xbf5ff5aa, v36, -v88
	;; [unrolled: 1-line block ×4, first 2 shown]
	v_dual_add_f32 v89, v37, v39 :: v_dual_add_f32 v90, v38, v81
	v_dual_add_f32 v37, v83, v39 :: v_dual_add_f32 v38, v84, v81
	v_add_f32_e32 v39, v32, v39
	v_add_f32_e32 v81, v33, v81
	v_dual_fmac_f32 v85, 0xbee1c552, v34 :: v_dual_fmac_f32 v86, 0xbee1c552, v35
	v_dual_fmac_f32 v87, 0xbee1c552, v34 :: v_dual_fmac_f32 v88, 0xbee1c552, v35
	v_fmac_f32_e32 v82, 0xbee1c552, v34
	v_fmac_f32_e32 v36, 0xbee1c552, v35
	s_delay_alu instid0(VALU_DEP_4) | instskip(NEXT) | instid1(VALU_DEP_4)
	v_add_f32_e32 v30, v86, v89
	v_dual_sub_f32 v31, v90, v85 :: v_dual_add_f32 v32, v88, v39
	s_delay_alu instid0(VALU_DEP_4) | instskip(NEXT) | instid1(VALU_DEP_4)
	v_sub_f32_e32 v33, v81, v82
	v_dual_sub_f32 v34, v37, v36 :: v_dual_add_f32 v35, v87, v38
	v_dual_add_f32 v36, v36, v37 :: v_dual_sub_f32 v37, v38, v87
	v_dual_sub_f32 v38, v39, v88 :: v_dual_add_f32 v39, v82, v81
	v_sub_f32_e32 v81, v89, v86
	v_add_f32_e32 v82, v85, v90
	ds_store_2addr_b64 v214, v[2:3], v[4:5] offset1:24
	ds_store_2addr_b64 v214, v[6:7], v[8:9] offset0:48 offset1:72
	ds_store_2addr_b64 v214, v[10:11], v[12:13] offset0:96 offset1:120
	ds_store_b64 v214, v[14:15] offset:1152
	ds_store_2addr_b64 v215, v[16:17], v[18:19] offset1:24
	ds_store_2addr_b64 v215, v[20:21], v[22:23] offset0:48 offset1:72
	ds_store_2addr_b64 v215, v[24:25], v[26:27] offset0:96 offset1:120
	ds_store_b64 v215, v[28:29] offset:1152
	ds_store_2addr_b64 v216, v[0:1], v[30:31] offset1:24
	ds_store_2addr_b64 v216, v[32:33], v[34:35] offset0:48 offset1:72
	ds_store_2addr_b64 v216, v[36:37], v[38:39] offset0:96 offset1:120
	ds_store_b64 v216, v[81:82] offset:1152
	s_waitcnt lgkmcnt(0)
	s_barrier
	buffer_gl0_inv
	ds_load_2addr_b64 v[0:3], v171 offset0:112 offset1:168
	ds_load_2addr_b64 v[4:7], v76 offset0:80 offset1:136
	;; [unrolled: 1-line block ×4, first 2 shown]
	ds_load_2addr_b64 v[16:19], v171 offset1:56
	ds_load_2addr_b64 v[20:23], v77 offset0:16 offset1:72
	ds_load_2addr_b64 v[24:27], v80 offset0:112 offset1:168
	;; [unrolled: 1-line block ×5, first 2 shown]
	ds_load_b64 v[80:81], v171 offset:8960
	s_waitcnt lgkmcnt(10)
	v_mul_f32_e32 v82, v41, v3
	s_waitcnt lgkmcnt(8)
	v_mul_f32_e32 v83, v65, v11
	v_mul_f32_e32 v65, v65, v10
	s_delay_alu instid0(VALU_DEP_3) | instskip(SKIP_4) | instid1(VALU_DEP_3)
	v_fmac_f32_e32 v82, v40, v2
	v_dual_mul_f32 v2, v41, v2 :: v_dual_mul_f32 v41, v43, v5
	v_mul_f32_e32 v43, v43, v4
	s_waitcnt lgkmcnt(7)
	v_dual_fmac_f32 v83, v64, v10 :: v_dual_mul_f32 v10, v67, v12
	v_fma_f32 v2, v40, v3, -v2
	v_fmac_f32_e32 v41, v42, v4
	v_fma_f32 v3, v42, v5, -v43
	v_fma_f32 v4, v64, v11, -v65
	v_mul_f32_e32 v5, v67, v13
	s_waitcnt lgkmcnt(5)
	v_mul_f32_e32 v11, v69, v23
	v_mul_f32_e32 v40, v69, v22
	s_waitcnt lgkmcnt(4)
	v_mul_f32_e32 v42, v71, v25
	v_fma_f32 v10, v66, v13, -v10
	v_fmac_f32_e32 v5, v66, v12
	v_fmac_f32_e32 v11, v68, v22
	v_fma_f32 v12, v68, v23, -v40
	v_fmac_f32_e32 v42, v70, v24
	s_waitcnt lgkmcnt(3)
	v_dual_mul_f32 v13, v71, v24 :: v_dual_mul_f32 v22, v49, v29
	v_mul_f32_e32 v24, v51, v7
	v_dual_mul_f32 v40, v51, v6 :: v_dual_mul_f32 v23, v49, v28
	s_delay_alu instid0(VALU_DEP_3) | instskip(NEXT) | instid1(VALU_DEP_4)
	v_fma_f32 v13, v70, v25, -v13
	v_fmac_f32_e32 v22, v48, v28
	s_delay_alu instid0(VALU_DEP_4) | instskip(NEXT) | instid1(VALU_DEP_4)
	v_fmac_f32_e32 v24, v50, v6
	v_fma_f32 v25, v50, v7, -v40
	s_waitcnt lgkmcnt(2)
	v_mul_f32_e32 v28, v57, v33
	v_mul_f32_e32 v6, v57, v32
	s_waitcnt lgkmcnt(1)
	v_dual_mul_f32 v40, v45, v37 :: v_dual_mul_f32 v7, v59, v14
	v_fma_f32 v23, v48, v29, -v23
	v_fmac_f32_e32 v28, v56, v32
	v_fma_f32 v32, v56, v33, -v6
	s_delay_alu instid0(VALU_DEP_4)
	v_fmac_f32_e32 v40, v44, v36
	v_mul_f32_e32 v6, v45, v36
	v_mul_f32_e32 v36, v47, v27
	;; [unrolled: 1-line block ×3, first 2 shown]
	v_fma_f32 v33, v58, v15, -v7
	v_mul_f32_e32 v45, v63, v21
	v_fma_f32 v37, v44, v37, -v6
	v_fmac_f32_e32 v36, v46, v26
	v_mul_f32_e32 v7, v47, v26
	v_dual_fmac_f32 v29, v58, v14 :: v_dual_mul_f32 v6, v55, v8
	v_mul_f32_e32 v44, v61, v35
	v_mul_f32_e32 v43, v53, v31
	s_delay_alu instid0(VALU_DEP_4)
	v_fma_f32 v26, v46, v27, -v7
	v_mul_f32_e32 v7, v61, v34
	v_mul_f32_e32 v14, v53, v30
	v_fma_f32 v46, v54, v9, -v6
	v_fmac_f32_e32 v44, v60, v34
	v_mul_f32_e32 v6, v63, v20
	v_fma_f32 v34, v60, v35, -v7
	v_mul_f32_e32 v35, v73, v39
	v_mul_f32_e32 v7, v73, v38
	v_fmac_f32_e32 v43, v52, v30
	v_fma_f32 v30, v52, v31, -v14
	v_mul_f32_e32 v31, v55, v9
	v_fma_f32 v48, v62, v21, -v6
	v_fmac_f32_e32 v35, v72, v38
	v_fma_f32 v38, v72, v39, -v7
	v_add_f32_e32 v6, v82, v42
	v_add_f32_e32 v7, v2, v13
	v_dual_sub_f32 v2, v2, v13 :: v_dual_add_f32 v9, v41, v11
	v_add_f32_e32 v13, v3, v12
	v_sub_f32_e32 v3, v3, v12
	v_add_f32_e32 v12, v83, v5
	v_add_f32_e32 v14, v4, v10
	v_sub_f32_e32 v4, v10, v4
	v_add_f32_e32 v10, v9, v6
	v_add_f32_e32 v15, v13, v7
	v_fmac_f32_e32 v45, v62, v20
	v_sub_f32_e32 v11, v41, v11
	v_sub_f32_e32 v20, v9, v6
	v_dual_sub_f32 v21, v13, v7 :: v_dual_sub_f32 v6, v6, v12
	v_sub_f32_e32 v7, v7, v14
	v_sub_f32_e32 v9, v12, v9
	v_sub_f32_e32 v13, v14, v13
	v_add_f32_e32 v41, v4, v3
	v_add_f32_e32 v10, v12, v10
	;; [unrolled: 1-line block ×3, first 2 shown]
	v_fmac_f32_e32 v31, v54, v8
	s_waitcnt lgkmcnt(0)
	v_dual_mul_f32 v8, v75, v80 :: v_dual_sub_f32 v49, v4, v3
	v_sub_f32_e32 v4, v2, v4
	v_sub_f32_e32 v14, v3, v2
	v_add_f32_e32 v15, v41, v2
	v_dual_add_f32 v2, v16, v10 :: v_dual_add_f32 v3, v17, v12
	v_mul_f32_e32 v7, 0x3f4a47b2, v7
	v_mul_f32_e32 v16, 0x3d64c772, v9
	;; [unrolled: 1-line block ×3, first 2 shown]
	v_fma_f32 v39, v74, v81, -v8
	v_mul_f32_e32 v41, 0x3f08b237, v49
	v_mul_f32_e32 v49, 0xbf5ff5aa, v14
	v_fmamk_f32 v10, v10, 0xbf955555, v2
	v_fmamk_f32 v12, v12, 0xbf955555, v3
	v_fmamk_f32 v13, v13, 0x3d64c772, v7
	v_fma_f32 v16, 0x3f3bfb3b, v20, -v16
	v_fma_f32 v17, 0x3f3bfb3b, v21, -v17
	;; [unrolled: 1-line block ×3, first 2 shown]
	v_fmamk_f32 v21, v4, 0xbeae86e6, v41
	v_fma_f32 v14, 0xbf5ff5aa, v14, -v41
	v_fma_f32 v41, 0x3eae86e6, v4, -v49
	v_add_f32_e32 v49, v13, v12
	v_dual_add_f32 v13, v16, v10 :: v_dual_add_f32 v16, v17, v12
	v_dual_sub_f32 v5, v5, v83 :: v_dual_sub_f32 v8, v82, v42
	v_mul_f32_e32 v6, 0x3f4a47b2, v6
	v_fmac_f32_e32 v21, 0xbee1c552, v15
	v_fmac_f32_e32 v41, 0xbee1c552, v15
	s_delay_alu instid0(VALU_DEP_4) | instskip(SKIP_2) | instid1(VALU_DEP_3)
	v_add_f32_e32 v27, v5, v11
	v_dual_sub_f32 v42, v5, v11 :: v_dual_sub_f32 v5, v8, v5
	v_sub_f32_e32 v11, v11, v8
	v_dual_fmamk_f32 v9, v9, 0x3d64c772, v6 :: v_dual_add_f32 v8, v27, v8
	s_delay_alu instid0(VALU_DEP_3) | instskip(SKIP_1) | instid1(VALU_DEP_4)
	v_mul_f32_e32 v27, 0x3f08b237, v42
	v_fma_f32 v6, 0xbf3bfb3b, v20, -v6
	v_mul_f32_e32 v42, 0xbf5ff5aa, v11
	v_fmac_f32_e32 v14, 0xbee1c552, v15
	v_add_f32_e32 v50, v7, v12
	v_fmamk_f32 v20, v5, 0xbeae86e6, v27
	v_fma_f32 v11, 0xbf5ff5aa, v11, -v27
	v_fma_f32 v27, 0x3eae86e6, v5, -v42
	v_add_f32_e32 v42, v9, v10
	s_delay_alu instid0(VALU_DEP_4) | instskip(NEXT) | instid1(VALU_DEP_4)
	v_dual_add_f32 v17, v6, v10 :: v_dual_fmac_f32 v20, 0xbee1c552, v8
	v_fmac_f32_e32 v11, 0xbee1c552, v8
	s_delay_alu instid0(VALU_DEP_3) | instskip(NEXT) | instid1(VALU_DEP_3)
	v_dual_fmac_f32 v27, 0xbee1c552, v8 :: v_dual_add_f32 v4, v21, v42
	v_add_f32_e32 v6, v41, v17
	s_delay_alu instid0(VALU_DEP_4) | instskip(NEXT) | instid1(VALU_DEP_4)
	v_sub_f32_e32 v5, v49, v20
	v_dual_sub_f32 v8, v13, v14 :: v_dual_add_f32 v9, v11, v16
	v_dual_add_f32 v10, v14, v13 :: v_dual_sub_f32 v11, v16, v11
	v_sub_f32_e32 v12, v17, v41
	v_sub_f32_e32 v14, v42, v21
	v_dual_add_f32 v15, v20, v49 :: v_dual_add_f32 v16, v22, v36
	v_dual_add_f32 v17, v23, v26 :: v_dual_sub_f32 v20, v22, v36
	v_dual_sub_f32 v21, v23, v26 :: v_dual_add_f32 v22, v24, v40
	v_add_f32_e32 v23, v25, v37
	v_sub_f32_e32 v7, v50, v27
	v_dual_add_f32 v13, v27, v50 :: v_dual_sub_f32 v24, v24, v40
	v_sub_f32_e32 v25, v25, v37
	v_add_f32_e32 v26, v28, v29
	v_dual_add_f32 v27, v32, v33 :: v_dual_sub_f32 v28, v29, v28
	v_sub_f32_e32 v29, v33, v32
	v_dual_add_f32 v32, v22, v16 :: v_dual_add_f32 v33, v23, v17
	v_dual_mul_f32 v47, v75, v81 :: v_dual_sub_f32 v36, v22, v16
	v_dual_sub_f32 v22, v26, v22 :: v_dual_sub_f32 v37, v23, v17
	v_dual_sub_f32 v40, v16, v26 :: v_dual_sub_f32 v41, v17, v27
	v_dual_sub_f32 v23, v27, v23 :: v_dual_add_f32 v16, v28, v24
	v_dual_add_f32 v17, v29, v25 :: v_dual_sub_f32 v42, v28, v24
	v_dual_sub_f32 v49, v29, v25 :: v_dual_sub_f32 v24, v24, v20
	v_dual_add_f32 v26, v26, v32 :: v_dual_add_f32 v27, v27, v33
	v_fmac_f32_e32 v47, v74, v80
	v_dual_sub_f32 v28, v20, v28 :: v_dual_sub_f32 v29, v21, v29
	v_dual_sub_f32 v25, v25, v21 :: v_dual_add_f32 v20, v16, v20
	s_delay_alu instid0(VALU_DEP_4)
	v_dual_add_f32 v21, v17, v21 :: v_dual_add_f32 v16, v18, v26
	v_dual_add_f32 v17, v19, v27 :: v_dual_mul_f32 v18, 0x3f4a47b2, v40
	v_mul_f32_e32 v19, 0x3f4a47b2, v41
	v_dual_mul_f32 v32, 0x3d64c772, v22 :: v_dual_mul_f32 v33, 0x3d64c772, v23
	v_dual_mul_f32 v40, 0x3f08b237, v42 :: v_dual_mul_f32 v41, 0x3f08b237, v49
	;; [unrolled: 1-line block ×3, first 2 shown]
	v_dual_fmamk_f32 v26, v26, 0xbf955555, v16 :: v_dual_fmamk_f32 v27, v27, 0xbf955555, v17
	v_dual_fmamk_f32 v22, v22, 0x3d64c772, v18 :: v_dual_fmamk_f32 v23, v23, 0x3d64c772, v19
	v_fma_f32 v32, 0x3f3bfb3b, v36, -v32
	v_fma_f32 v33, 0x3f3bfb3b, v37, -v33
	;; [unrolled: 1-line block ×4, first 2 shown]
	v_dual_fmamk_f32 v36, v28, 0xbeae86e6, v40 :: v_dual_fmamk_f32 v37, v29, 0xbeae86e6, v41
	v_fma_f32 v40, 0xbf5ff5aa, v24, -v40
	v_fma_f32 v24, 0xbf5ff5aa, v25, -v41
	v_fma_f32 v28, 0x3eae86e6, v28, -v42
	v_fma_f32 v29, 0x3eae86e6, v29, -v49
	v_dual_add_f32 v41, v22, v26 :: v_dual_add_f32 v42, v23, v27
	v_dual_add_f32 v25, v32, v26 :: v_dual_add_f32 v32, v33, v27
	v_add_f32_e32 v27, v19, v27
	v_dual_fmac_f32 v37, 0xbee1c552, v21 :: v_dual_fmac_f32 v40, 0xbee1c552, v20
	v_fmac_f32_e32 v28, 0xbee1c552, v20
	v_fmac_f32_e32 v24, 0xbee1c552, v21
	v_add_f32_e32 v26, v18, v26
	v_dual_fmac_f32 v36, 0xbee1c552, v20 :: v_dual_fmac_f32 v29, 0xbee1c552, v21
	s_delay_alu instid0(VALU_DEP_4) | instskip(NEXT) | instid1(VALU_DEP_4)
	v_dual_add_f32 v18, v37, v41 :: v_dual_sub_f32 v21, v27, v28
	v_sub_f32_e32 v22, v25, v24
	v_add_f32_e32 v23, v40, v32
	v_add_f32_e32 v24, v24, v25
	v_sub_f32_e32 v25, v32, v40
	v_dual_add_f32 v27, v28, v27 :: v_dual_sub_f32 v28, v41, v37
	v_add_f32_e32 v32, v43, v47
	v_add_f32_e32 v33, v30, v39
	v_sub_f32_e32 v30, v30, v39
	v_add_f32_e32 v37, v31, v35
	v_add_f32_e32 v39, v46, v38
	v_dual_sub_f32 v19, v42, v36 :: v_dual_add_f32 v20, v29, v26
	v_dual_sub_f32 v26, v26, v29 :: v_dual_add_f32 v29, v36, v42
	v_sub_f32_e32 v36, v43, v47
	v_sub_f32_e32 v31, v31, v35
	v_dual_sub_f32 v35, v46, v38 :: v_dual_add_f32 v38, v44, v45
	v_add_f32_e32 v40, v34, v48
	v_dual_sub_f32 v41, v45, v44 :: v_dual_sub_f32 v34, v48, v34
	v_dual_add_f32 v42, v37, v32 :: v_dual_add_f32 v43, v39, v33
	v_dual_sub_f32 v44, v37, v32 :: v_dual_sub_f32 v45, v39, v33
	s_delay_alu instid0(VALU_DEP_4)
	v_dual_sub_f32 v32, v32, v38 :: v_dual_sub_f32 v33, v33, v40
	v_sub_f32_e32 v37, v38, v37
	v_sub_f32_e32 v39, v40, v39
	v_add_f32_e32 v46, v41, v31
	v_add_f32_e32 v47, v34, v35
	v_sub_f32_e32 v48, v41, v31
	v_sub_f32_e32 v49, v34, v35
	v_dual_sub_f32 v31, v31, v36 :: v_dual_add_f32 v38, v38, v42
	v_dual_add_f32 v40, v40, v43 :: v_dual_sub_f32 v35, v35, v30
	v_dual_sub_f32 v41, v36, v41 :: v_dual_sub_f32 v34, v30, v34
	v_add_f32_e32 v36, v46, v36
	v_add_f32_e32 v30, v47, v30
	s_delay_alu instid0(VALU_DEP_4)
	v_dual_add_f32 v0, v0, v38 :: v_dual_add_f32 v1, v1, v40
	v_dual_mul_f32 v32, 0x3f4a47b2, v32 :: v_dual_mul_f32 v33, 0x3f4a47b2, v33
	v_dual_mul_f32 v42, 0x3d64c772, v37 :: v_dual_mul_f32 v43, 0x3d64c772, v39
	;; [unrolled: 1-line block ×3, first 2 shown]
	v_mul_f32_e32 v48, 0xbf5ff5aa, v31
	v_mul_f32_e32 v49, 0xbf5ff5aa, v35
	v_fmamk_f32 v38, v38, 0xbf955555, v0
	v_fmamk_f32 v40, v40, 0xbf955555, v1
	;; [unrolled: 1-line block ×4, first 2 shown]
	v_fma_f32 v42, 0x3f3bfb3b, v44, -v42
	v_fma_f32 v43, 0x3f3bfb3b, v45, -v43
	;; [unrolled: 1-line block ×4, first 2 shown]
	v_dual_fmamk_f32 v44, v41, 0xbeae86e6, v46 :: v_dual_fmamk_f32 v45, v34, 0xbeae86e6, v47
	v_fma_f32 v46, 0xbf5ff5aa, v31, -v46
	v_fma_f32 v47, 0xbf5ff5aa, v35, -v47
	;; [unrolled: 1-line block ×4, first 2 shown]
	v_dual_add_f32 v49, v37, v38 :: v_dual_add_f32 v50, v39, v40
	v_add_f32_e32 v37, v42, v38
	v_dual_add_f32 v39, v43, v40 :: v_dual_add_f32 v38, v32, v38
	v_add_f32_e32 v40, v33, v40
	v_dual_fmac_f32 v44, 0xbee1c552, v36 :: v_dual_fmac_f32 v45, 0xbee1c552, v30
	v_fmac_f32_e32 v46, 0xbee1c552, v36
	v_dual_fmac_f32 v48, 0xbee1c552, v30 :: v_dual_fmac_f32 v41, 0xbee1c552, v36
	s_delay_alu instid0(VALU_DEP_3) | instskip(NEXT) | instid1(VALU_DEP_2)
	v_dual_fmac_f32 v47, 0xbee1c552, v30 :: v_dual_add_f32 v30, v45, v49
	v_dual_sub_f32 v31, v50, v44 :: v_dual_add_f32 v32, v48, v38
	s_delay_alu instid0(VALU_DEP_2)
	v_dual_sub_f32 v33, v40, v41 :: v_dual_sub_f32 v34, v37, v47
	v_dual_add_f32 v35, v46, v39 :: v_dual_add_f32 v36, v47, v37
	v_dual_sub_f32 v37, v39, v46 :: v_dual_sub_f32 v38, v38, v48
	v_add_f32_e32 v39, v41, v40
	v_dual_sub_f32 v40, v49, v45 :: v_dual_add_f32 v41, v44, v50
	ds_store_b64 v171, v[4:5] offset:1344
	ds_store_b64 v171, v[6:7] offset:2688
	;; [unrolled: 1-line block ×6, first 2 shown]
	ds_store_2addr_b64 v171, v[2:3], v[16:17] offset1:56
	ds_store_b64 v171, v[22:23] offset:4480
	ds_store_b64 v171, v[24:25] offset:5824
	;; [unrolled: 1-line block ×6, first 2 shown]
	ds_store_2addr_b64 v78, v[18:19], v[30:31] offset0:96 offset1:152
	ds_store_b64 v171, v[32:33] offset:3584
	ds_store_b64 v171, v[34:35] offset:4928
	;; [unrolled: 1-line block ×5, first 2 shown]
	s_waitcnt lgkmcnt(0)
	s_barrier
	buffer_gl0_inv
	ds_load_2addr_b64 v[0:3], v171 offset1:56
	v_mad_u64_u32 v[10:11], null, s6, v132, 0
	v_mad_u64_u32 v[26:27], null, s4, v173, 0
	s_waitcnt lgkmcnt(0)
	v_mul_f32_e32 v4, v164, v1
	v_mul_f32_e32 v18, v158, v3
	;; [unrolled: 1-line block ×3, first 2 shown]
	s_delay_alu instid0(VALU_DEP_3) | instskip(SKIP_1) | instid1(VALU_DEP_4)
	v_fmac_f32_e32 v4, v163, v0
	v_mul_f32_e32 v0, v164, v0
	v_fmac_f32_e32 v18, v157, v2
	s_delay_alu instid0(VALU_DEP_3) | instskip(NEXT) | instid1(VALU_DEP_3)
	v_cvt_f64_f32_e32 v[8:9], v4
	v_fma_f32 v0, v163, v1, -v0
	ds_load_2addr_b64 v[4:7], v79 offset0:76 offset1:132
	v_cvt_f64_f32_e32 v[18:19], v18
	v_cvt_f64_f32_e32 v[0:1], v0
	s_waitcnt lgkmcnt(0)
	v_mul_f32_e32 v14, v162, v5
	v_mul_f32_e32 v2, v160, v7
	s_delay_alu instid0(VALU_DEP_2) | instskip(SKIP_1) | instid1(VALU_DEP_3)
	v_fmac_f32_e32 v14, v161, v4
	v_mul_f32_e32 v4, v162, v4
	v_fmac_f32_e32 v2, v159, v6
	s_delay_alu instid0(VALU_DEP_3) | instskip(NEXT) | instid1(VALU_DEP_2)
	v_cvt_f64_f32_e32 v[14:15], v14
	v_cvt_f64_f32_e32 v[22:23], v2
	v_mul_f64 v[8:9], v[8:9], s[2:3]
	v_mul_f64 v[12:13], v[0:1], s[2:3]
	v_fma_f32 v1, v157, v3, -v16
	v_mul_f32_e32 v3, v160, v6
	v_fma_f32 v0, v161, v5, -v4
	s_delay_alu instid0(VALU_DEP_3) | instskip(NEXT) | instid1(VALU_DEP_3)
	v_cvt_f64_f32_e32 v[20:21], v1
	v_fma_f32 v1, v159, v7, -v3
	s_delay_alu instid0(VALU_DEP_3) | instskip(SKIP_1) | instid1(VALU_DEP_3)
	v_cvt_f64_f32_e32 v[16:17], v0
	v_mov_b32_e32 v0, v11
	v_cvt_f64_f32_e32 v[24:25], v1
	s_delay_alu instid0(VALU_DEP_2) | instskip(SKIP_3) | instid1(VALU_DEP_2)
	v_mad_u64_u32 v[4:5], null, s7, v132, v[0:1]
	ds_load_2addr_b64 v[0:3], v171 offset0:112 offset1:168
	v_mov_b32_e32 v5, v27
	v_mov_b32_e32 v11, v4
	v_mad_u64_u32 v[27:28], null, s5, v173, v[5:6]
	ds_load_2addr_b64 v[4:7], v79 offset0:188 offset1:244
	v_lshlrev_b64 v[10:11], 3, v[10:11]
	v_cvt_f32_f64_e32 v8, v[8:9]
	s_delay_alu instid0(VALU_DEP_2) | instskip(NEXT) | instid1(VALU_DEP_1)
	v_add_co_u32 v64, s0, s8, v10
	v_add_co_ci_u32_e64 v65, s0, s9, v11, s0
	s_waitcnt lgkmcnt(1)
	v_mul_f32_e32 v28, v152, v1
	v_cvt_f32_f64_e32 v9, v[12:13]
	v_mul_f64 v[12:13], v[14:15], s[2:3]
	v_mul_f32_e32 v30, v150, v2
	v_lshlrev_b64 v[14:15], 3, v[26:27]
	v_fmac_f32_e32 v28, v151, v0
	v_mul_f32_e32 v0, v152, v0
	s_waitcnt lgkmcnt(0)
	v_mul_f32_e32 v29, v156, v5
	v_mul_f64 v[10:11], v[16:17], s[2:3]
	v_mul_f64 v[16:17], v[18:19], s[2:3]
	;; [unrolled: 1-line block ×5, first 2 shown]
	v_fma_f32 v0, v151, v1, -v0
	v_fmac_f32_e32 v29, v155, v4
	v_dual_mul_f32 v1, v156, v4 :: v_dual_mul_f32 v4, v150, v3
	v_cvt_f64_f32_e32 v[24:25], v28
	s_delay_alu instid0(VALU_DEP_4) | instskip(NEXT) | instid1(VALU_DEP_4)
	v_cvt_f64_f32_e32 v[26:27], v0
	v_cvt_f64_f32_e32 v[28:29], v29
	s_delay_alu instid0(VALU_DEP_4)
	v_fma_f32 v0, v155, v5, -v1
	v_fmac_f32_e32 v4, v149, v2
	v_fma_f32 v1, v149, v3, -v30
	v_mul_f32_e32 v2, v154, v7
	v_mul_f32_e32 v3, v154, v6
	v_cvt_f64_f32_e32 v[30:31], v0
	v_cvt_f64_f32_e32 v[32:33], v4
	;; [unrolled: 1-line block ×3, first 2 shown]
	v_fmac_f32_e32 v2, v153, v6
	v_fma_f32 v0, v153, v7, -v3
	ds_load_2addr_b64 v[4:7], v77 offset0:44 offset1:100
	v_add_co_u32 v14, s0, v64, v14
	v_cvt_f64_f32_e32 v[36:37], v2
	v_cvt_f64_f32_e32 v[38:39], v0
	ds_load_2addr_b64 v[0:3], v78 offset0:96 offset1:152
	v_add_co_ci_u32_e64 v15, s0, v65, v15, s0
	s_mul_i32 s0, s5, 0x24c
	v_cvt_f32_f64_e32 v12, v[12:13]
	s_add_i32 s1, s1, s0
	s_mul_i32 s0, s4, 0x24c
	s_delay_alu instid0(SALU_CYCLE_1)
	s_lshl_b64 s[6:7], s[0:1], 3
	s_mul_i32 s1, s5, 0xfffffdec
	v_cvt_f32_f64_e32 v13, v[10:11]
	v_cvt_f32_f64_e32 v16, v[16:17]
	;; [unrolled: 1-line block ×5, first 2 shown]
	s_waitcnt lgkmcnt(1)
	v_mul_f32_e32 v42, v144, v5
	v_add_co_u32 v10, s0, v14, s6
	s_delay_alu instid0(VALU_DEP_1)
	v_add_co_ci_u32_e64 v11, s0, s7, v15, s0
	s_waitcnt lgkmcnt(0)
	v_mul_f32_e32 v40, v148, v1
	s_mul_hi_u32 s0, s4, 0xfffffdec
	v_fmac_f32_e32 v42, v143, v4
	s_sub_i32 s0, s0, s4
	v_mul_f32_e32 v44, v146, v2
	v_fmac_f32_e32 v40, v147, v0
	v_mul_f32_e32 v0, v148, v0
	s_add_i32 s1, s0, s1
	s_mul_i32 s0, s4, 0xfffffdec
	v_mul_f64 v[22:23], v[24:25], s[2:3]
	s_lshl_b64 s[8:9], s[0:1], 3
	v_fma_f32 v0, v147, v1, -v0
	v_dual_mul_f32 v1, v144, v4 :: v_dual_mul_f32 v4, v146, v3
	v_add_co_u32 v18, s0, v10, s8
	v_mul_f64 v[24:25], v[26:27], s[2:3]
	v_mul_f64 v[26:27], v[28:29], s[2:3]
	s_delay_alu instid0(VALU_DEP_4)
	v_fmac_f32_e32 v4, v145, v2
	v_mul_f64 v[28:29], v[30:31], s[2:3]
	v_mul_f64 v[30:31], v[32:33], s[2:3]
	;; [unrolled: 1-line block ×5, first 2 shown]
	v_cvt_f64_f32_e32 v[38:39], v40
	v_cvt_f64_f32_e32 v[40:41], v0
	v_fma_f32 v0, v143, v5, -v1
	v_fma_f32 v1, v145, v3, -v44
	v_mul_f32_e32 v2, v142, v7
	v_mul_f32_e32 v3, v142, v6
	v_add_co_ci_u32_e64 v19, s0, s9, v11, s0
	v_cvt_f64_f32_e32 v[46:47], v4
	v_cvt_f64_f32_e32 v[44:45], v0
	v_fmac_f32_e32 v2, v141, v6
	v_fma_f32 v0, v141, v7, -v3
	v_add_co_u32 v4, s0, v18, s6
	s_delay_alu instid0(VALU_DEP_1)
	v_add_co_ci_u32_e64 v5, s0, s7, v19, s0
	s_clause 0x3
	global_store_b64 v[14:15], v[8:9], off
	global_store_b64 v[10:11], v[12:13], off
	;; [unrolled: 1-line block ×4, first 2 shown]
	v_cvt_f64_f32_e32 v[48:49], v1
	v_cvt_f64_f32_e32 v[50:51], v2
	;; [unrolled: 1-line block ×3, first 2 shown]
	ds_load_2addr_b64 v[0:3], v76 offset0:80 offset1:136
	v_add_nc_u32_e32 v13, 0x2000, v171
	v_cvt_f64_f32_e32 v[42:43], v42
	ds_load_2addr_b64 v[8:11], v76 offset0:192 offset1:248
	v_add_co_u32 v18, s0, v4, s8
	s_delay_alu instid0(VALU_DEP_1)
	v_add_co_ci_u32_e64 v19, s0, s9, v5, s0
	ds_load_2addr_b64 v[4:7], v77 offset0:156 offset1:212
	v_cvt_f32_f64_e32 v16, v[22:23]
	v_cvt_f32_f64_e32 v17, v[24:25]
	v_add_co_u32 v22, s0, v18, s6
	v_cvt_f32_f64_e32 v21, v[28:29]
	v_cvt_f32_f64_e32 v24, v[30:31]
	;; [unrolled: 1-line block ×5, first 2 shown]
	v_mul_f64 v[30:31], v[38:39], s[2:3]
	v_mul_f64 v[32:33], v[40:41], s[2:3]
	s_waitcnt lgkmcnt(2)
	v_mul_f32_e32 v12, v140, v1
	v_add_co_ci_u32_e64 v23, s0, s7, v19, s0
	s_waitcnt lgkmcnt(1)
	v_mul_f32_e32 v58, v129, v11
	s_delay_alu instid0(VALU_DEP_3) | instskip(SKIP_2) | instid1(VALU_DEP_4)
	v_dual_mul_f32 v59, v129, v10 :: v_dual_fmac_f32 v12, v139, v0
	v_mul_f64 v[38:39], v[46:47], s[2:3]
	v_mul_f32_e32 v0, v140, v0
	v_fmac_f32_e32 v58, v128, v10
	s_delay_alu instid0(VALU_DEP_4)
	v_fma_f32 v59, v128, v11, -v59
	v_cvt_f64_f32_e32 v[46:47], v12
	ds_load_2addr_b64 v[12:15], v13 offset0:12 offset1:68
	v_fma_f32 v0, v139, v1, -v0
	v_mul_f64 v[36:37], v[44:45], s[2:3]
	v_mul_f32_e32 v54, v125, v9
	v_mul_f64 v[40:41], v[48:49], s[2:3]
	s_waitcnt lgkmcnt(1)
	v_mul_f32_e32 v48, v136, v5
	v_mul_f32_e32 v49, v136, v4
	v_mul_f64 v[44:45], v[52:53], s[2:3]
	v_cvt_f64_f32_e32 v[0:1], v0
	v_mul_f64 v[34:35], v[42:43], s[2:3]
	v_mul_f64 v[42:43], v[50:51], s[2:3]
	v_mul_f32_e32 v50, v138, v3
	v_dual_mul_f32 v51, v138, v2 :: v_dual_fmac_f32 v48, v135, v4
	v_fma_f32 v4, v135, v5, -v49
	v_mul_f32_e32 v52, v134, v7
	v_mul_f32_e32 v53, v134, v6
	v_fmac_f32_e32 v50, v137, v2
	v_fma_f32 v51, v137, v3, -v51
	v_cvt_f64_f32_e32 v[2:3], v48
	s_waitcnt lgkmcnt(0)
	v_mul_f32_e32 v56, v127, v13
	v_cvt_f64_f32_e32 v[4:5], v4
	v_mul_f32_e32 v55, v125, v8
	v_fmac_f32_e32 v52, v133, v6
	v_fma_f32 v53, v133, v7, -v53
	v_fmac_f32_e32 v56, v126, v12
	v_mul_f32_e32 v12, v127, v12
	v_mul_f32_e32 v60, v131, v15
	v_dual_mul_f32 v61, v131, v14 :: v_dual_fmac_f32 v54, v124, v8
	v_fma_f32 v55, v124, v9, -v55
	s_delay_alu instid0(VALU_DEP_4)
	v_fma_f32 v12, v126, v13, -v12
	v_cvt_f64_f32_e32 v[6:7], v52
	v_cvt_f64_f32_e32 v[8:9], v53
	;; [unrolled: 1-line block ×6, first 2 shown]
	v_fmac_f32_e32 v60, v130, v14
	v_fma_f32 v61, v130, v15, -v61
	v_cvt_f64_f32_e32 v[52:53], v54
	v_cvt_f64_f32_e32 v[54:55], v55
	;; [unrolled: 1-line block ×6, first 2 shown]
	v_cvt_f32_f64_e32 v30, v[30:31]
	v_cvt_f32_f64_e32 v31, v[32:33]
	v_mul_f64 v[32:33], v[46:47], s[2:3]
	v_mul_f64 v[0:1], v[0:1], s[2:3]
	v_cvt_f32_f64_e32 v20, v[26:27]
	v_add_co_u32 v26, s0, v22, s8
	s_delay_alu instid0(VALU_DEP_1)
	v_add_co_ci_u32_e64 v27, s0, s9, v23, s0
	v_cvt_f32_f64_e32 v34, v[34:35]
	v_cvt_f32_f64_e32 v35, v[36:37]
	v_mul_f64 v[2:3], v[2:3], s[2:3]
	v_add_co_u32 v62, s0, v26, s6
	v_mul_f64 v[4:5], v[4:5], s[2:3]
	v_add_co_ci_u32_e64 v63, s0, s7, v27, s0
	v_cvt_f32_f64_e32 v42, v[42:43]
	v_cvt_f32_f64_e32 v43, v[44:45]
	v_add_co_u32 v46, s0, v62, s8
	s_delay_alu instid0(VALU_DEP_1)
	v_add_co_ci_u32_e64 v47, s0, s9, v63, s0
	v_cvt_f32_f64_e32 v38, v[38:39]
	v_mul_f64 v[6:7], v[6:7], s[2:3]
	v_mul_f64 v[8:9], v[8:9], s[2:3]
	;; [unrolled: 1-line block ×6, first 2 shown]
	v_add_co_u32 v50, s0, v46, s6
	v_mul_f64 v[52:53], v[52:53], s[2:3]
	v_mul_f64 v[54:55], v[54:55], s[2:3]
	;; [unrolled: 1-line block ×6, first 2 shown]
	v_add_co_ci_u32_e64 v51, s0, s7, v47, s0
	v_cvt_f32_f64_e32 v39, v[40:41]
	v_add_co_u32 v40, s0, v50, s8
	s_delay_alu instid0(VALU_DEP_1) | instskip(SKIP_1) | instid1(VALU_DEP_3)
	v_add_co_ci_u32_e64 v41, s0, s9, v51, s0
	v_cvt_f32_f64_e32 v32, v[32:33]
	v_add_co_u32 v60, s0, v40, s6
	s_delay_alu instid0(VALU_DEP_1) | instskip(SKIP_1) | instid1(VALU_DEP_3)
	v_add_co_ci_u32_e64 v61, s0, s7, v41, s0
	v_cvt_f32_f64_e32 v33, v[0:1]
	v_add_co_u32 v0, s0, v60, s8
	s_delay_alu instid0(VALU_DEP_1) | instskip(SKIP_2) | instid1(VALU_DEP_4)
	v_add_co_ci_u32_e64 v1, s0, s9, v61, s0
	v_cvt_f32_f64_e32 v2, v[2:3]
	v_cvt_f32_f64_e32 v3, v[4:5]
	v_add_co_u32 v4, s0, v0, s6
	s_delay_alu instid0(VALU_DEP_1)
	v_add_co_ci_u32_e64 v5, s0, s7, v1, s0
	global_store_b64 v[18:19], v[16:17], off
	v_cvt_f32_f64_e32 v6, v[6:7]
	v_cvt_f32_f64_e32 v7, v[8:9]
	v_add_co_u32 v8, s0, v4, s8
	v_cvt_f32_f64_e32 v36, v[36:37]
	v_cvt_f32_f64_e32 v12, v[12:13]
	;; [unrolled: 1-line block ×3, first 2 shown]
	v_add_co_ci_u32_e64 v9, s0, s9, v5, s0
	v_mad_u64_u32 v[48:49], null, s4, v172, 0
	v_add_co_u32 v16, s0, v8, s6
	v_cvt_f32_f64_e32 v18, v[52:53]
	v_cvt_f32_f64_e32 v19, v[54:55]
	v_add_co_ci_u32_e64 v17, s0, s7, v9, s0
	v_cvt_f32_f64_e32 v44, v[44:45]
	v_cvt_f32_f64_e32 v45, v[10:11]
	;; [unrolled: 1-line block ×5, first 2 shown]
	global_store_b64 v[22:23], v[20:21], off
	global_store_b64 v[26:27], v[24:25], off
	v_mov_b32_e32 v20, v49
	v_mad_u64_u32 v[10:11], null, 0x1c0, s4, v[16:17]
	global_store_b64 v[62:63], v[28:29], off
	global_store_b64 v[46:47], v[30:31], off
	;; [unrolled: 1-line block ×4, first 2 shown]
	v_mad_u64_u32 v[21:22], null, s5, v172, v[20:21]
	global_store_b64 v[60:61], v[42:43], off
	global_store_b64 v[0:1], v[32:33], off
	;; [unrolled: 1-line block ×5, first 2 shown]
	v_mad_u64_u32 v[22:23], null, 0x1c0, s5, v[11:12]
	v_mov_b32_e32 v49, v21
	v_add_co_u32 v2, s0, v10, s8
	s_delay_alu instid0(VALU_DEP_2) | instskip(NEXT) | instid1(VALU_DEP_4)
	v_lshlrev_b64 v[0:1], 3, v[48:49]
	v_mov_b32_e32 v11, v22
	s_delay_alu instid0(VALU_DEP_1) | instskip(NEXT) | instid1(VALU_DEP_3)
	v_add_co_ci_u32_e64 v3, s0, s9, v11, s0
	v_add_co_u32 v4, s0, v64, v0
	s_delay_alu instid0(VALU_DEP_1) | instskip(SKIP_1) | instid1(VALU_DEP_1)
	v_add_co_ci_u32_e64 v5, s0, v65, v1, s0
	v_add_co_u32 v0, s0, v2, s6
	v_add_co_ci_u32_e64 v1, s0, s7, v3, s0
	global_store_b64 v[4:5], v[18:19], off
	global_store_b64 v[10:11], v[44:45], off
	;; [unrolled: 1-line block ×4, first 2 shown]
	s_and_b32 exec_lo, exec_lo, vcc_lo
	s_cbranch_execz .LBB0_31
; %bb.30:
	global_load_b64 v[2:3], v[120:121], off offset:384
	ds_load_b64 v[4:5], v171 offset:4480
	ds_load_b64 v[6:7], v171 offset:9184
	v_add_co_u32 v0, vcc_lo, v0, s8
	v_add_co_ci_u32_e32 v1, vcc_lo, s9, v1, vcc_lo
	s_waitcnt vmcnt(0) lgkmcnt(1)
	v_mul_f32_e32 v8, v5, v3
	v_mul_f32_e32 v3, v4, v3
	s_delay_alu instid0(VALU_DEP_2) | instskip(NEXT) | instid1(VALU_DEP_2)
	v_fmac_f32_e32 v8, v4, v2
	v_fma_f32 v4, v2, v5, -v3
	s_delay_alu instid0(VALU_DEP_2) | instskip(NEXT) | instid1(VALU_DEP_2)
	v_cvt_f64_f32_e32 v[2:3], v8
	v_cvt_f64_f32_e32 v[4:5], v4
	s_delay_alu instid0(VALU_DEP_2) | instskip(NEXT) | instid1(VALU_DEP_2)
	v_mul_f64 v[2:3], v[2:3], s[2:3]
	v_mul_f64 v[4:5], v[4:5], s[2:3]
	s_delay_alu instid0(VALU_DEP_2) | instskip(NEXT) | instid1(VALU_DEP_2)
	v_cvt_f32_f64_e32 v2, v[2:3]
	v_cvt_f32_f64_e32 v3, v[4:5]
	global_store_b64 v[0:1], v[2:3], off
	global_load_b64 v[2:3], v[122:123], off offset:992
	v_add_co_u32 v0, vcc_lo, v0, s6
	v_add_co_ci_u32_e32 v1, vcc_lo, s7, v1, vcc_lo
	s_waitcnt vmcnt(0) lgkmcnt(0)
	v_mul_f32_e32 v4, v7, v3
	v_mul_f32_e32 v3, v6, v3
	s_delay_alu instid0(VALU_DEP_2) | instskip(NEXT) | instid1(VALU_DEP_2)
	v_fmac_f32_e32 v4, v6, v2
	v_fma_f32 v5, v2, v7, -v3
	s_delay_alu instid0(VALU_DEP_2) | instskip(NEXT) | instid1(VALU_DEP_2)
	v_cvt_f64_f32_e32 v[2:3], v4
	v_cvt_f64_f32_e32 v[4:5], v5
	s_delay_alu instid0(VALU_DEP_2) | instskip(NEXT) | instid1(VALU_DEP_2)
	v_mul_f64 v[2:3], v[2:3], s[2:3]
	v_mul_f64 v[4:5], v[4:5], s[2:3]
	s_delay_alu instid0(VALU_DEP_2) | instskip(NEXT) | instid1(VALU_DEP_2)
	v_cvt_f32_f64_e32 v2, v[2:3]
	v_cvt_f32_f64_e32 v3, v[4:5]
	global_store_b64 v[0:1], v[2:3], off
.LBB0_31:
	s_nop 0
	s_sendmsg sendmsg(MSG_DEALLOC_VGPRS)
	s_endpgm
	.section	.rodata,"a",@progbits
	.p2align	6, 0x0
	.amdhsa_kernel bluestein_single_back_len1176_dim1_sp_op_CI_CI
		.amdhsa_group_segment_fixed_size 9408
		.amdhsa_private_segment_fixed_size 0
		.amdhsa_kernarg_size 104
		.amdhsa_user_sgpr_count 15
		.amdhsa_user_sgpr_dispatch_ptr 0
		.amdhsa_user_sgpr_queue_ptr 0
		.amdhsa_user_sgpr_kernarg_segment_ptr 1
		.amdhsa_user_sgpr_dispatch_id 0
		.amdhsa_user_sgpr_private_segment_size 0
		.amdhsa_wavefront_size32 1
		.amdhsa_uses_dynamic_stack 0
		.amdhsa_enable_private_segment 0
		.amdhsa_system_sgpr_workgroup_id_x 1
		.amdhsa_system_sgpr_workgroup_id_y 0
		.amdhsa_system_sgpr_workgroup_id_z 0
		.amdhsa_system_sgpr_workgroup_info 0
		.amdhsa_system_vgpr_workitem_id 0
		.amdhsa_next_free_vgpr 251
		.amdhsa_next_free_sgpr 20
		.amdhsa_reserve_vcc 1
		.amdhsa_float_round_mode_32 0
		.amdhsa_float_round_mode_16_64 0
		.amdhsa_float_denorm_mode_32 3
		.amdhsa_float_denorm_mode_16_64 3
		.amdhsa_dx10_clamp 1
		.amdhsa_ieee_mode 1
		.amdhsa_fp16_overflow 0
		.amdhsa_workgroup_processor_mode 1
		.amdhsa_memory_ordered 1
		.amdhsa_forward_progress 0
		.amdhsa_shared_vgpr_count 0
		.amdhsa_exception_fp_ieee_invalid_op 0
		.amdhsa_exception_fp_denorm_src 0
		.amdhsa_exception_fp_ieee_div_zero 0
		.amdhsa_exception_fp_ieee_overflow 0
		.amdhsa_exception_fp_ieee_underflow 0
		.amdhsa_exception_fp_ieee_inexact 0
		.amdhsa_exception_int_div_zero 0
	.end_amdhsa_kernel
	.text
.Lfunc_end0:
	.size	bluestein_single_back_len1176_dim1_sp_op_CI_CI, .Lfunc_end0-bluestein_single_back_len1176_dim1_sp_op_CI_CI
                                        ; -- End function
	.section	.AMDGPU.csdata,"",@progbits
; Kernel info:
; codeLenInByte = 21620
; NumSgprs: 22
; NumVgprs: 251
; ScratchSize: 0
; MemoryBound: 0
; FloatMode: 240
; IeeeMode: 1
; LDSByteSize: 9408 bytes/workgroup (compile time only)
; SGPRBlocks: 2
; VGPRBlocks: 31
; NumSGPRsForWavesPerEU: 22
; NumVGPRsForWavesPerEU: 251
; Occupancy: 5
; WaveLimiterHint : 1
; COMPUTE_PGM_RSRC2:SCRATCH_EN: 0
; COMPUTE_PGM_RSRC2:USER_SGPR: 15
; COMPUTE_PGM_RSRC2:TRAP_HANDLER: 0
; COMPUTE_PGM_RSRC2:TGID_X_EN: 1
; COMPUTE_PGM_RSRC2:TGID_Y_EN: 0
; COMPUTE_PGM_RSRC2:TGID_Z_EN: 0
; COMPUTE_PGM_RSRC2:TIDIG_COMP_CNT: 0
	.text
	.p2alignl 7, 3214868480
	.fill 96, 4, 3214868480
	.type	__hip_cuid_451d0167df12f20f,@object ; @__hip_cuid_451d0167df12f20f
	.section	.bss,"aw",@nobits
	.globl	__hip_cuid_451d0167df12f20f
__hip_cuid_451d0167df12f20f:
	.byte	0                               ; 0x0
	.size	__hip_cuid_451d0167df12f20f, 1

	.ident	"AMD clang version 19.0.0git (https://github.com/RadeonOpenCompute/llvm-project roc-6.4.0 25133 c7fe45cf4b819c5991fe208aaa96edf142730f1d)"
	.section	".note.GNU-stack","",@progbits
	.addrsig
	.addrsig_sym __hip_cuid_451d0167df12f20f
	.amdgpu_metadata
---
amdhsa.kernels:
  - .args:
      - .actual_access:  read_only
        .address_space:  global
        .offset:         0
        .size:           8
        .value_kind:     global_buffer
      - .actual_access:  read_only
        .address_space:  global
        .offset:         8
        .size:           8
        .value_kind:     global_buffer
      - .actual_access:  read_only
        .address_space:  global
        .offset:         16
        .size:           8
        .value_kind:     global_buffer
      - .actual_access:  read_only
        .address_space:  global
        .offset:         24
        .size:           8
        .value_kind:     global_buffer
      - .actual_access:  read_only
        .address_space:  global
        .offset:         32
        .size:           8
        .value_kind:     global_buffer
      - .offset:         40
        .size:           8
        .value_kind:     by_value
      - .address_space:  global
        .offset:         48
        .size:           8
        .value_kind:     global_buffer
      - .address_space:  global
        .offset:         56
        .size:           8
        .value_kind:     global_buffer
      - .address_space:  global
        .offset:         64
        .size:           8
        .value_kind:     global_buffer
      - .address_space:  global
        .offset:         72
        .size:           8
        .value_kind:     global_buffer
      - .offset:         80
        .size:           4
        .value_kind:     by_value
      - .address_space:  global
        .offset:         88
        .size:           8
        .value_kind:     global_buffer
      - .address_space:  global
        .offset:         96
        .size:           8
        .value_kind:     global_buffer
    .group_segment_fixed_size: 9408
    .kernarg_segment_align: 8
    .kernarg_segment_size: 104
    .language:       OpenCL C
    .language_version:
      - 2
      - 0
    .max_flat_workgroup_size: 56
    .name:           bluestein_single_back_len1176_dim1_sp_op_CI_CI
    .private_segment_fixed_size: 0
    .sgpr_count:     22
    .sgpr_spill_count: 0
    .symbol:         bluestein_single_back_len1176_dim1_sp_op_CI_CI.kd
    .uniform_work_group_size: 1
    .uses_dynamic_stack: false
    .vgpr_count:     251
    .vgpr_spill_count: 0
    .wavefront_size: 32
    .workgroup_processor_mode: 1
amdhsa.target:   amdgcn-amd-amdhsa--gfx1100
amdhsa.version:
  - 1
  - 2
...

	.end_amdgpu_metadata
